;; amdgpu-corpus repo=ROCm/rocFFT kind=compiled arch=gfx1030 opt=O3
	.text
	.amdgcn_target "amdgcn-amd-amdhsa--gfx1030"
	.amdhsa_code_object_version 6
	.protected	bluestein_single_back_len891_dim1_dp_op_CI_CI ; -- Begin function bluestein_single_back_len891_dim1_dp_op_CI_CI
	.globl	bluestein_single_back_len891_dim1_dp_op_CI_CI
	.p2align	8
	.type	bluestein_single_back_len891_dim1_dp_op_CI_CI,@function
bluestein_single_back_len891_dim1_dp_op_CI_CI: ; @bluestein_single_back_len891_dim1_dp_op_CI_CI
; %bb.0:
	s_load_dwordx4 s[12:15], s[4:5], 0x28
	v_mul_u32_u24_e32 v1, 0x296, v0
	v_mov_b32_e32 v161, 0
	s_mov_b32 s0, exec_lo
	v_lshrrev_b32_e32 v37, 16, v1
	v_lshl_add_u32 v160, s6, 1, v37
	s_waitcnt lgkmcnt(0)
	v_cmpx_gt_u64_e64 s[12:13], v[160:161]
	s_cbranch_execz .LBB0_10
; %bb.1:
	s_clause 0x1
	s_load_dwordx4 s[8:11], s[4:5], 0x18
	s_load_dwordx4 s[0:3], s[4:5], 0x0
	v_mul_lo_u16 v1, 0x63, v37
	v_and_b32_e32 v37, 1, v37
	s_mov_b32 s7, 0x3fe491b7
	s_mov_b32 s12, 0xa2cf5039
	;; [unrolled: 1-line block ×3, first 2 shown]
	v_sub_nc_u16 v36, v0, v1
	s_load_dwordx2 s[4:5], s[4:5], 0x38
	v_and_b32_e32 v211, 0xffff, v36
	v_lshlrev_b32_e32 v110, 4, v211
	s_waitcnt lgkmcnt(0)
	s_load_dwordx4 s[16:19], s[8:9], 0x0
	s_clause 0x1
	global_load_dwordx4 v[0:3], v110, s[0:1]
	global_load_dwordx4 v[4:7], v110, s[0:1] offset:1584
	v_add_co_u32 v216, s6, s0, v110
	v_add_co_ci_u32_e64 v217, null, s1, 0, s6
	v_add_co_u32 v8, vcc_lo, 0x800, v216
	v_add_co_ci_u32_e32 v9, vcc_lo, 0, v217, vcc_lo
	v_add_co_u32 v14, vcc_lo, 0x1000, v216
	v_add_co_ci_u32_e32 v15, vcc_lo, 0, v217, vcc_lo
	;; [unrolled: 2-line block ×3, first 2 shown]
	s_waitcnt lgkmcnt(0)
	v_mad_u64_u32 v[12:13], null, s18, v160, 0
	v_mad_u64_u32 v[16:17], null, s16, v211, 0
	v_add_co_u32 v24, vcc_lo, 0x2000, v216
	v_add_co_ci_u32_e32 v25, vcc_lo, 0, v217, vcc_lo
	v_mov_b32_e32 v10, v13
	v_add_co_u32 v28, vcc_lo, 0x2800, v216
	v_mov_b32_e32 v11, v17
	v_add_co_ci_u32_e32 v29, vcc_lo, 0, v217, vcc_lo
	v_add_co_u32 v124, vcc_lo, 0x3000, v216
	v_mad_u64_u32 v[20:21], null, s19, v160, v[10:11]
	v_mad_u64_u32 v[21:22], null, s17, v211, v[11:12]
	v_add_co_ci_u32_e32 v125, vcc_lo, 0, v217, vcc_lo
	s_mul_i32 s0, s17, 0x630
	s_mul_hi_u32 s1, s16, 0x630
	v_mov_b32_e32 v13, v20
	s_mul_i32 s6, s16, 0x630
	v_mov_b32_e32 v17, v21
	s_add_i32 s1, s1, s0
	global_load_dwordx4 v[8:11], v[8:9], off offset:1120
	v_lshlrev_b64 v[20:21], 4, v[12:13]
	global_load_dwordx4 v[12:15], v[14:15], off offset:656
	v_lshlrev_b64 v[16:17], 4, v[16:17]
	v_add_co_u32 v20, vcc_lo, s14, v20
	v_add_co_ci_u32_e32 v21, vcc_lo, s15, v21, vcc_lo
	s_mov_b32 s14, 0x7e0b738b
	v_add_co_u32 v30, vcc_lo, v20, v16
	v_add_co_ci_u32_e32 v31, vcc_lo, v21, v17, vcc_lo
	s_clause 0x1
	global_load_dwordx4 v[20:23], v[18:19], off offset:192
	global_load_dwordx4 v[16:19], v[18:19], off offset:1776
	v_add_co_u32 v32, vcc_lo, v30, s6
	v_add_co_ci_u32_e32 v33, vcc_lo, s1, v31, vcc_lo
	global_load_dwordx4 v[24:27], v[24:25], off offset:1312
	v_add_co_u32 v34, vcc_lo, v32, s6
	v_add_co_ci_u32_e32 v35, vcc_lo, s1, v33, vcc_lo
	s_clause 0x1
	global_load_dwordx4 v[38:41], v[30:31], off
	global_load_dwordx4 v[42:45], v[32:33], off
	v_add_co_u32 v50, vcc_lo, v34, s6
	v_add_co_ci_u32_e32 v51, vcc_lo, s1, v35, vcc_lo
	global_load_dwordx4 v[46:49], v[34:35], off
	v_add_co_u32 v30, vcc_lo, v50, s6
	v_add_co_ci_u32_e32 v31, vcc_lo, s1, v51, vcc_lo
	global_load_dwordx4 v[50:53], v[50:51], off
	v_add_co_u32 v32, vcc_lo, v30, s6
	v_add_co_ci_u32_e32 v33, vcc_lo, s1, v31, vcc_lo
	global_load_dwordx4 v[54:57], v[30:31], off
	v_add_co_u32 v34, vcc_lo, v32, s6
	v_add_co_ci_u32_e32 v35, vcc_lo, s1, v33, vcc_lo
	global_load_dwordx4 v[58:61], v[32:33], off
	v_add_co_u32 v66, vcc_lo, v34, s6
	v_add_co_ci_u32_e32 v67, vcc_lo, s1, v35, vcc_lo
	s_mov_b32 s15, 0x3fc63a1a
	v_add_co_u32 v70, vcc_lo, v66, s6
	v_add_co_ci_u32_e32 v71, vcc_lo, s1, v67, vcc_lo
	global_load_dwordx4 v[62:65], v[34:35], off
	global_load_dwordx4 v[28:31], v[28:29], off offset:848
	global_load_dwordx4 v[66:69], v[66:67], off
	global_load_dwordx4 v[32:35], v[124:125], off offset:384
	global_load_dwordx4 v[70:73], v[70:71], off
	v_cmp_eq_u32_e32 vcc_lo, 1, v37
	s_load_dwordx4 s[8:11], s[10:11], 0x0
	s_mov_b32 s6, 0x523c161c
	s_mov_b32 s0, 0x8c811c17
	;; [unrolled: 1-line block ×3, first 2 shown]
	v_cndmask_b32_e64 v111, 0, 0x37b, vcc_lo
	v_cmp_gt_u16_e32 vcc_lo, 0x51, v36
	v_lshlrev_b32_e32 v213, 4, v111
	v_add_nc_u32_e32 v212, v213, v110
	s_waitcnt vmcnt(10)
	v_mul_f64 v[74:75], v[40:41], v[2:3]
	v_mul_f64 v[76:77], v[38:39], v[2:3]
	s_waitcnt vmcnt(9)
	v_mul_f64 v[78:79], v[44:45], v[6:7]
	v_mul_f64 v[80:81], v[42:43], v[6:7]
	;; [unrolled: 3-line block ×6, first 2 shown]
	v_fma_f64 v[37:38], v[38:39], v[0:1], v[74:75]
	v_fma_f64 v[39:40], v[40:41], v[0:1], -v[76:77]
	v_fma_f64 v[41:42], v[42:43], v[4:5], v[78:79]
	v_fma_f64 v[43:44], v[44:45], v[4:5], -v[80:81]
	s_waitcnt vmcnt(4)
	v_mul_f64 v[98:99], v[64:65], v[26:27]
	v_mul_f64 v[100:101], v[62:63], v[26:27]
	s_waitcnt vmcnt(2)
	v_mul_f64 v[102:103], v[68:69], v[30:31]
	v_mul_f64 v[104:105], v[66:67], v[30:31]
	;; [unrolled: 3-line block ×3, first 2 shown]
	v_fma_f64 v[45:46], v[46:47], v[8:9], v[82:83]
	v_fma_f64 v[47:48], v[48:49], v[8:9], -v[84:85]
	v_fma_f64 v[49:50], v[50:51], v[12:13], v[86:87]
	v_fma_f64 v[51:52], v[52:53], v[12:13], -v[88:89]
	;; [unrolled: 2-line block ×7, first 2 shown]
	ds_write_b128 v212, v[37:40]
	ds_write_b128 v212, v[41:44] offset:1584
	ds_write_b128 v212, v[45:48] offset:3168
	;; [unrolled: 1-line block ×8, first 2 shown]
	s_waitcnt lgkmcnt(0)
	s_barrier
	buffer_gl0_inv
	ds_read_b128 v[37:40], v212 offset:1584
	ds_read_b128 v[41:44], v212 offset:12672
	;; [unrolled: 1-line block ×6, first 2 shown]
	ds_read_b128 v[61:64], v212
	s_waitcnt lgkmcnt(5)
	v_add_f64 v[65:66], v[37:38], -v[41:42]
	v_add_f64 v[67:68], v[39:40], -v[43:44]
	v_add_f64 v[69:70], v[37:38], v[41:42]
	v_add_f64 v[71:72], v[39:40], v[43:44]
	s_waitcnt lgkmcnt(3)
	v_add_f64 v[73:74], v[45:46], v[49:50]
	v_add_f64 v[75:76], v[47:48], v[51:52]
	v_add_f64 v[77:78], v[45:46], -v[49:50]
	v_add_f64 v[79:80], v[47:48], -v[51:52]
	s_waitcnt lgkmcnt(1)
	v_add_f64 v[81:82], v[57:58], v[53:54]
	v_add_f64 v[83:84], v[59:60], v[55:56]
	v_add_f64 v[53:54], v[57:58], -v[53:54]
	v_add_f64 v[55:56], v[59:60], -v[55:56]
	ds_read_b128 v[37:40], v212 offset:4752
	ds_read_b128 v[41:44], v212 offset:9504
	s_waitcnt lgkmcnt(0)
	s_barrier
	buffer_gl0_inv
	v_mul_f64 v[57:58], v[65:66], s[6:7]
	v_mul_f64 v[59:60], v[67:68], s[6:7]
	s_mov_b32 s7, 0xbfe491b7
	v_fma_f64 v[85:86], v[69:70], s[12:13], v[61:62]
	v_fma_f64 v[87:88], v[71:72], s[12:13], v[63:64]
	;; [unrolled: 1-line block ×4, first 2 shown]
	v_mul_f64 v[93:94], v[77:78], s[0:1]
	v_mul_f64 v[95:96], v[79:80], s[0:1]
	v_fma_f64 v[97:98], v[81:82], s[12:13], v[61:62]
	v_fma_f64 v[99:100], v[83:84], s[12:13], v[63:64]
	v_mul_f64 v[101:102], v[79:80], s[6:7]
	v_mul_f64 v[103:104], v[77:78], s[6:7]
	v_add_f64 v[105:106], v[37:38], v[41:42]
	v_add_f64 v[107:108], v[39:40], v[43:44]
	;; [unrolled: 1-line block ×4, first 2 shown]
	v_add_f64 v[37:38], v[37:38], -v[41:42]
	v_add_f64 v[39:40], v[39:40], -v[43:44]
	s_mov_b32 s12, 0xe8584cab
	s_mov_b32 s13, 0x3febb67a
	v_fma_f64 v[41:42], v[53:54], s[0:1], v[57:58]
	v_fma_f64 v[43:44], v[55:56], s[0:1], v[59:60]
	;; [unrolled: 1-line block ×6, first 2 shown]
	v_fma_f64 v[89:90], v[53:54], s[6:7], -v[93:94]
	v_fma_f64 v[91:92], v[55:56], s[6:7], -v[95:96]
	v_fma_f64 v[93:94], v[73:74], s[14:15], v[97:98]
	v_fma_f64 v[95:96], v[75:76], s[14:15], v[99:100]
	v_fma_f64 v[97:98], v[67:68], s[0:1], v[101:102]
	v_fma_f64 v[99:100], v[65:66], s[0:1], v[103:104]
	s_mov_b32 s1, 0xbfebb67a
	s_mov_b32 s0, s12
	v_add_f64 v[101:102], v[77:78], v[65:66]
	v_add_f64 v[103:104], v[79:80], v[67:68]
	;; [unrolled: 1-line block ×8, first 2 shown]
	v_fma_f64 v[41:42], v[37:38], s[12:13], v[41:42]
	v_fma_f64 v[43:44], v[39:40], s[12:13], v[43:44]
	v_fma_f64 v[57:58], v[105:106], -0.5, v[57:58]
	v_fma_f64 v[59:60], v[107:108], -0.5, v[59:60]
	;; [unrolled: 1-line block ×4, first 2 shown]
	v_fma_f64 v[89:90], v[37:38], s[12:13], v[89:90]
	v_fma_f64 v[91:92], v[39:40], s[12:13], v[91:92]
	v_fma_f64 v[93:94], v[105:106], -0.5, v[93:94]
	v_fma_f64 v[95:96], v[107:108], -0.5, v[95:96]
	v_fma_f64 v[39:40], v[39:40], s[0:1], v[97:98]
	v_fma_f64 v[37:38], v[37:38], s[0:1], v[99:100]
	s_mov_b32 s6, 0x748a0bf8
	s_mov_b32 s14, 0x42522d1b
	;; [unrolled: 1-line block ×4, first 2 shown]
	v_add_f64 v[98:99], v[101:102], -v[53:54]
	v_add_f64 v[100:101], v[103:104], -v[55:56]
	v_fma_f64 v[102:103], v[117:118], -0.5, v[113:114]
	v_fma_f64 v[104:105], v[119:120], -0.5, v[115:116]
	v_add_f64 v[45:46], v[45:46], v[109:110]
	v_add_f64 v[47:48], v[47:48], v[111:112]
	v_fma_f64 v[41:42], v[77:78], s[6:7], v[41:42]
	v_fma_f64 v[43:44], v[79:80], s[6:7], v[43:44]
	;; [unrolled: 1-line block ×12, first 2 shown]
                                        ; implicit-def: $vgpr112_vgpr113
                                        ; implicit-def: $vgpr116_vgpr117
	v_mul_f64 v[53:54], v[98:99], s[12:13]
	v_mul_f64 v[55:56], v[100:101], s[12:13]
	v_fma_f64 v[96:97], v[100:101], s[12:13], v[102:103]
	v_fma_f64 v[98:99], v[98:99], s[0:1], v[104:105]
	v_add_f64 v[45:46], v[49:50], v[45:46]
	v_add_f64 v[47:48], v[51:52], v[47:48]
	v_mul_lo_u16 v49, v36, 9
	v_add_f64 v[108:109], v[43:44], v[57:58]
	v_add_f64 v[110:111], v[59:60], -v[41:42]
	v_add_f64 v[76:77], v[67:68], v[69:70]
	v_add_f64 v[78:79], v[71:72], -v[65:66]
	v_add_f64 v[104:105], v[73:74], v[39:40]
	v_add_f64 v[106:107], v[80:81], -v[37:38]
	v_fma_f64 v[88:89], v[55:56], -2.0, v[96:97]
	v_fma_f64 v[90:91], v[53:54], 2.0, v[98:99]
	v_add_f64 v[80:81], v[61:62], v[45:46]
	v_add_f64 v[82:83], v[63:64], v[47:48]
	v_fma_f64 v[100:101], v[43:44], -2.0, v[108:109]
	v_fma_f64 v[102:103], v[41:42], 2.0, v[110:111]
	v_fma_f64 v[84:85], v[67:68], -2.0, v[76:77]
	v_fma_f64 v[86:87], v[65:66], 2.0, v[78:79]
	v_fma_f64 v[92:93], v[39:40], -2.0, v[104:105]
	v_fma_f64 v[94:95], v[37:38], 2.0, v[106:107]
	v_and_b32_e32 v37, 0xffff, v49
	v_lshl_add_u32 v218, v37, 4, v213
	ds_write_b128 v218, v[96:99] offset:48
	ds_write_b128 v218, v[80:83]
	ds_write_b128 v218, v[108:111] offset:16
	ds_write_b128 v218, v[76:79] offset:64
	ds_write_b128 v218, v[88:91] offset:96
	ds_write_b128 v218, v[104:107] offset:32
	ds_write_b128 v218, v[84:87] offset:80
	ds_write_b128 v218, v[100:103] offset:128
	ds_write_b128 v218, v[92:95] offset:112
	s_waitcnt lgkmcnt(0)
	s_barrier
	buffer_gl0_inv
	s_and_saveexec_b32 s0, vcc_lo
	s_cbranch_execz .LBB0_3
; %bb.2:
	ds_read_b128 v[80:83], v212
	ds_read_b128 v[108:111], v212 offset:1296
	ds_read_b128 v[104:107], v212 offset:2592
	;; [unrolled: 1-line block ×10, first 2 shown]
.LBB0_3:
	s_or_b32 exec_lo, exec_lo, s0
	v_and_b32_e32 v36, 0xff, v211
	v_mov_b32_e32 v37, 10
	s_mov_b32 s0, 0xf8bb580b
	s_mov_b32 s6, 0x8eee2c13
	s_mov_b32 s1, 0xbfe14ced
	v_mul_lo_u16 v36, v36, 57
	s_mov_b32 s7, 0xbfed1bb4
	s_mov_b32 s12, 0x8764f0ba
	;; [unrolled: 1-line block ×4, first 2 shown]
	v_lshrrev_b16 v214, 9, v36
	s_mov_b32 s13, 0x3feaeb8c
	s_mov_b32 s15, 0x3fda9628
	;; [unrolled: 1-line block ×4, first 2 shown]
	v_mul_lo_u16 v36, v214, 9
	s_mov_b32 s18, 0x7f775887
	s_mov_b32 s22, 0xfd768dbf
	;; [unrolled: 1-line block ×4, first 2 shown]
	v_sub_nc_u16 v215, v211, v36
	s_mov_b32 s23, 0x3fd207e7
	s_mov_b32 s26, 0x640f44db
	;; [unrolled: 1-line block ×4, first 2 shown]
	v_mul_u32_u24_sdwa v36, v215, v37 dst_sel:DWORD dst_unused:UNUSED_PAD src0_sel:BYTE_0 src1_sel:DWORD
	s_mov_b32 s25, 0xbfeeb42a
	s_mov_b32 s35, 0x3fefac9e
	;; [unrolled: 1-line block ×4, first 2 shown]
	v_lshlrev_b32_e32 v56, 4, v36
	s_mov_b32 s29, 0x3fe14ced
	s_mov_b32 s30, s22
	;; [unrolled: 1-line block ×3, first 2 shown]
	s_clause 0x9
	global_load_dwordx4 v[36:39], v56, s[2:3]
	global_load_dwordx4 v[72:75], v56, s[2:3] offset:144
	global_load_dwordx4 v[64:67], v56, s[2:3] offset:16
	;; [unrolled: 1-line block ×9, first 2 shown]
	s_waitcnt vmcnt(0) lgkmcnt(0)
	s_barrier
	buffer_gl0_inv
	v_mul_f64 v[120:121], v[108:109], v[38:39]
	v_mul_f64 v[122:123], v[116:117], v[74:75]
	;; [unrolled: 1-line block ×10, first 2 shown]
	v_fma_f64 v[136:137], v[110:111], v[36:37], v[120:121]
	v_fma_f64 v[110:111], v[118:119], v[72:73], v[122:123]
	v_fma_f64 v[138:139], v[108:109], v[36:37], -v[126:127]
	v_fma_f64 v[108:109], v[116:117], v[72:73], -v[128:129]
	v_mul_f64 v[118:119], v[96:97], v[42:43]
	v_mul_f64 v[120:121], v[100:101], v[46:47]
	;; [unrolled: 1-line block ×4, first 2 shown]
	v_fma_f64 v[116:117], v[106:107], v[64:65], v[130:131]
	v_fma_f64 v[106:107], v[114:115], v[68:69], v[132:133]
	v_fma_f64 v[114:115], v[104:105], v[64:65], -v[134:135]
	v_fma_f64 v[104:105], v[112:113], v[68:69], -v[140:141]
	v_mul_f64 v[128:129], v[76:77], v[50:51]
	v_mul_f64 v[130:131], v[92:93], v[54:55]
	;; [unrolled: 1-line block ×4, first 2 shown]
	v_fma_f64 v[156:157], v[88:89], v[56:57], -v[142:143]
	v_fma_f64 v[161:162], v[90:91], v[56:57], v[152:153]
	v_add_f64 v[163:164], v[136:137], -v[110:111]
	v_add_f64 v[201:202], v[136:137], v[110:111]
	v_add_f64 v[165:166], v[138:139], -v[108:109]
	v_fma_f64 v[112:113], v[98:99], v[40:41], v[118:119]
	v_fma_f64 v[98:99], v[102:103], v[44:45], v[120:121]
	v_fma_f64 v[102:103], v[96:97], v[40:41], -v[122:123]
	v_fma_f64 v[100:101], v[100:101], v[44:45], -v[126:127]
	v_add_f64 v[199:200], v[138:139], v[108:109]
	v_add_f64 v[118:119], v[116:117], -v[106:107]
	v_mul_f64 v[122:123], v[86:87], v[62:63]
	v_add_f64 v[96:97], v[114:115], -v[104:105]
	v_mul_f64 v[126:127], v[84:85], v[62:63]
	v_fma_f64 v[148:149], v[78:79], v[48:49], v[128:129]
	v_fma_f64 v[144:145], v[94:95], v[52:53], v[130:131]
	v_fma_f64 v[150:151], v[76:77], v[48:49], -v[132:133]
	v_fma_f64 v[146:147], v[92:93], v[52:53], -v[134:135]
	v_add_f64 v[94:95], v[114:115], v[104:105]
	v_add_f64 v[140:141], v[116:117], v[106:107]
	v_mul_f64 v[203:204], v[163:164], s[0:1]
	v_mul_f64 v[207:208], v[163:164], s[6:7]
	;; [unrolled: 1-line block ×4, first 2 shown]
	v_add_f64 v[120:121], v[112:113], -v[98:99]
	v_add_f64 v[132:133], v[112:113], v[98:99]
	v_add_f64 v[92:93], v[102:103], -v[100:101]
	v_mul_f64 v[167:168], v[118:119], s[6:7]
	v_mul_f64 v[175:176], v[118:119], s[20:21]
	;; [unrolled: 1-line block ×4, first 2 shown]
	v_fma_f64 v[154:155], v[84:85], v[60:61], -v[122:123]
	v_fma_f64 v[158:159], v[86:87], v[60:61], v[126:127]
	v_add_f64 v[86:87], v[102:103], v[100:101]
	v_add_f64 v[130:131], v[148:149], -v[144:145]
	v_add_f64 v[84:85], v[150:151], -v[146:147]
	v_add_f64 v[152:153], v[148:149], v[144:145]
	v_fma_f64 v[76:77], v[199:200], s[12:13], v[203:204]
	v_fma_f64 v[128:129], v[199:200], s[14:15], v[207:208]
	v_fma_f64 v[78:79], v[201:202], s[12:13], -v[205:206]
	v_fma_f64 v[134:135], v[201:202], s[14:15], -v[209:210]
	v_mul_f64 v[171:172], v[120:121], s[16:17]
	v_mul_f64 v[183:184], v[120:121], s[22:23]
	;; [unrolled: 1-line block ×4, first 2 shown]
	v_fma_f64 v[88:89], v[94:95], s[14:15], v[167:168]
	v_fma_f64 v[142:143], v[94:95], s[18:19], v[175:176]
	v_fma_f64 v[90:91], v[140:141], s[14:15], -v[169:170]
	v_fma_f64 v[187:188], v[140:141], s[18:19], -v[177:178]
	v_add_f64 v[126:127], v[154:155], -v[156:157]
	v_add_f64 v[122:123], v[158:159], -v[161:162]
	v_mul_f64 v[179:180], v[130:131], s[20:21]
	v_mul_f64 v[181:182], v[84:85], s[20:21]
	;; [unrolled: 1-line block ×4, first 2 shown]
	v_add_f64 v[76:77], v[80:81], v[76:77]
	v_add_f64 v[189:190], v[80:81], v[128:129]
	;; [unrolled: 1-line block ×5, first 2 shown]
	v_fma_f64 v[219:220], v[86:87], s[26:27], v[171:172]
	v_fma_f64 v[221:222], v[132:133], s[26:27], -v[173:174]
	v_fma_f64 v[223:224], v[86:87], s[24:25], v[183:184]
	v_fma_f64 v[225:226], v[132:133], s[24:25], -v[185:186]
	v_mul_f64 v[197:198], v[126:127], s[28:29]
	v_mul_f64 v[195:196], v[122:123], s[28:29]
	v_fma_f64 v[229:230], v[152:153], s[18:19], -v[181:182]
	v_fma_f64 v[233:234], v[152:153], s[26:27], -v[193:194]
	v_add_f64 v[76:77], v[88:89], v[76:77]
	v_add_f64 v[88:89], v[142:143], v[189:190]
	v_add_f64 v[78:79], v[90:91], v[78:79]
	v_add_f64 v[90:91], v[187:188], v[134:135]
	v_add_f64 v[134:135], v[154:155], v[156:157]
	v_add_f64 v[142:143], v[158:159], v[161:162]
	v_mul_f64 v[187:188], v[122:123], s[30:31]
	v_mul_f64 v[189:190], v[126:127], s[30:31]
	v_fma_f64 v[227:228], v[128:129], s[18:19], v[179:180]
	v_fma_f64 v[231:232], v[128:129], s[26:27], v[191:192]
	v_add_f64 v[76:77], v[219:220], v[76:77]
	v_add_f64 v[88:89], v[223:224], v[88:89]
	;; [unrolled: 1-line block ×4, first 2 shown]
	v_fma_f64 v[223:224], v[134:135], s[12:13], v[195:196]
	v_fma_f64 v[225:226], v[142:143], s[12:13], -v[197:198]
	v_fma_f64 v[219:220], v[134:135], s[24:25], v[187:188]
	v_fma_f64 v[221:222], v[142:143], s[24:25], -v[189:190]
	v_add_f64 v[76:77], v[227:228], v[76:77]
	v_add_f64 v[227:228], v[231:232], v[88:89]
	v_add_f64 v[78:79], v[229:230], v[78:79]
	v_add_f64 v[229:230], v[233:234], v[90:91]
	v_add_f64 v[88:89], v[219:220], v[76:77]
	v_add_f64 v[76:77], v[223:224], v[227:228]
	v_add_f64 v[90:91], v[221:222], v[78:79]
	v_add_f64 v[78:79], v[225:226], v[229:230]
	s_and_saveexec_b32 s33, vcc_lo
	s_cbranch_execz .LBB0_5
; %bb.4:
	v_mul_f64 v[219:220], v[201:202], s[14:15]
	v_mul_f64 v[221:222], v[201:202], s[18:19]
	s_mov_b32 s37, 0x3fe82f19
	s_mov_b32 s36, s20
	v_mul_f64 v[229:230], v[163:164], s[20:21]
	v_add_f64 v[237:238], v[80:81], v[138:139]
	s_mov_b32 s39, 0x3fed1bb4
	s_mov_b32 s38, s6
	v_mul_f64 v[245:246], v[142:143], s[26:27]
	v_mul_f64 v[247:248], v[122:123], s[16:17]
	v_add_f64 v[209:210], v[209:210], v[219:220]
	v_mul_f64 v[219:220], v[199:200], s[14:15]
	v_fma_f64 v[225:226], v[165:166], s[36:37], v[221:222]
	v_fma_f64 v[221:222], v[165:166], s[20:21], v[221:222]
	v_fma_f64 v[233:234], v[199:200], s[18:19], v[229:230]
	v_fma_f64 v[229:230], v[199:200], s[18:19], -v[229:230]
	v_add_f64 v[114:115], v[237:238], v[114:115]
	v_add_f64 v[209:210], v[82:83], v[209:210]
	v_add_f64 v[207:208], v[219:220], -v[207:208]
	v_mul_f64 v[219:220], v[201:202], s[12:13]
	v_add_f64 v[221:222], v[82:83], v[221:222]
	v_add_f64 v[229:230], v[80:81], v[229:230]
	v_add_f64 v[102:103], v[114:115], v[102:103]
	v_add_f64 v[207:208], v[80:81], v[207:208]
	v_add_f64 v[205:206], v[205:206], v[219:220]
	v_mul_f64 v[219:220], v[199:200], s[12:13]
	v_add_f64 v[102:103], v[102:103], v[150:151]
	v_add_f64 v[205:206], v[82:83], v[205:206]
	v_add_f64 v[203:204], v[219:220], -v[203:204]
	v_mul_f64 v[219:220], v[201:202], s[24:25]
	v_mul_f64 v[201:202], v[201:202], s[26:27]
	v_add_f64 v[102:103], v[102:103], v[154:155]
	v_add_f64 v[203:204], v[80:81], v[203:204]
	v_fma_f64 v[223:224], v[165:166], s[22:23], v[219:220]
	v_fma_f64 v[219:220], v[165:166], s[30:31], v[219:220]
	;; [unrolled: 1-line block ×4, first 2 shown]
	v_mul_f64 v[201:202], v[163:164], s[30:31]
	v_mul_f64 v[163:164], v[163:164], s[16:17]
	v_add_f64 v[102:103], v[102:103], v[156:157]
	v_add_f64 v[219:220], v[82:83], v[219:220]
	;; [unrolled: 1-line block ×3, first 2 shown]
	v_fma_f64 v[231:232], v[199:200], s[24:25], v[201:202]
	v_fma_f64 v[235:236], v[199:200], s[26:27], -v[163:164]
	v_fma_f64 v[163:164], v[199:200], s[26:27], v[163:164]
	v_fma_f64 v[201:202], v[199:200], s[24:25], -v[201:202]
	v_add_f64 v[199:200], v[82:83], v[136:137]
	v_add_f64 v[136:137], v[82:83], v[223:224]
	;; [unrolled: 1-line block ×9, first 2 shown]
	v_mul_f64 v[163:164], v[140:141], s[12:13]
	v_add_f64 v[201:202], v[80:81], v[201:202]
	v_add_f64 v[116:117], v[199:200], v[116:117]
	;; [unrolled: 1-line block ×3, first 2 shown]
	v_fma_f64 v[80:81], v[96:97], s[0:1], v[163:164]
	v_fma_f64 v[163:164], v[96:97], s[28:29], v[163:164]
	v_add_f64 v[112:113], v[116:117], v[112:113]
	v_add_f64 v[102:103], v[100:101], v[104:105]
	;; [unrolled: 1-line block ×3, first 2 shown]
	v_mul_f64 v[136:137], v[118:119], s[28:29]
	v_add_f64 v[163:164], v[163:164], v[219:220]
	v_add_f64 v[112:113], v[112:113], v[148:149]
	v_fma_f64 v[82:83], v[94:95], s[12:13], v[136:137]
	v_fma_f64 v[136:137], v[94:95], s[12:13], -v[136:137]
	v_add_f64 v[112:113], v[112:113], v[158:159]
	v_add_f64 v[82:83], v[82:83], v[138:139]
	v_mul_f64 v[138:139], v[132:133], s[18:19]
	v_add_f64 v[136:137], v[136:137], v[201:202]
	v_add_f64 v[112:113], v[112:113], v[161:162]
	v_fma_f64 v[165:166], v[92:93], s[36:37], v[138:139]
	v_fma_f64 v[138:139], v[92:93], s[20:21], v[138:139]
	v_add_f64 v[112:113], v[112:113], v[144:145]
	v_add_f64 v[80:81], v[165:166], v[80:81]
	v_mul_f64 v[165:166], v[120:121], s[20:21]
	v_add_f64 v[138:139], v[138:139], v[163:164]
	v_add_f64 v[98:99], v[112:113], v[98:99]
	v_fma_f64 v[239:240], v[86:87], s[18:19], v[165:166]
	v_fma_f64 v[163:164], v[86:87], s[18:19], -v[165:166]
	v_fma_f64 v[165:166], v[134:135], s[26:27], -v[247:248]
	v_add_f64 v[98:99], v[98:99], v[106:107]
	v_mul_f64 v[106:107], v[118:119], s[34:35]
	v_add_f64 v[82:83], v[239:240], v[82:83]
	v_mul_f64 v[239:240], v[152:153], s[14:15]
	v_add_f64 v[136:137], v[163:164], v[136:137]
	v_add_f64 v[100:101], v[98:99], v[110:111]
	;; [unrolled: 1-line block ×3, first 2 shown]
	v_mul_f64 v[102:103], v[140:141], s[26:27]
	v_mul_f64 v[110:111], v[132:133], s[12:13]
	v_fma_f64 v[108:109], v[94:95], s[26:27], -v[106:107]
	v_fma_f64 v[106:107], v[94:95], s[26:27], v[106:107]
	v_fma_f64 v[241:242], v[84:85], s[6:7], v[239:240]
	;; [unrolled: 1-line block ×5, first 2 shown]
	v_add_f64 v[108:109], v[108:109], v[229:230]
	v_fma_f64 v[102:103], v[96:97], s[16:17], v[102:103]
	v_fma_f64 v[110:111], v[92:93], s[28:29], v[110:111]
	v_add_f64 v[106:107], v[106:107], v[225:226]
	v_add_f64 v[80:81], v[241:242], v[80:81]
	v_mul_f64 v[241:242], v[130:131], s[38:39]
	v_add_f64 v[138:139], v[163:164], v[138:139]
	v_add_f64 v[104:105], v[104:105], v[221:222]
	;; [unrolled: 1-line block ×3, first 2 shown]
	v_fma_f64 v[163:164], v[128:129], s[14:15], -v[241:242]
	v_fma_f64 v[243:244], v[128:129], s[14:15], v[241:242]
	v_add_f64 v[104:105], v[112:113], v[104:105]
	v_mul_f64 v[112:113], v[120:121], s[0:1]
	v_add_f64 v[102:103], v[110:111], v[102:103]
	v_add_f64 v[136:137], v[163:164], v[136:137]
	v_fma_f64 v[163:164], v[126:127], s[16:17], v[245:246]
	v_add_f64 v[243:244], v[243:244], v[82:83]
	v_fma_f64 v[82:83], v[126:127], s[34:35], v[245:246]
	v_fma_f64 v[114:115], v[86:87], s[12:13], -v[112:113]
	v_fma_f64 v[110:111], v[86:87], s[12:13], v[112:113]
	v_add_f64 v[136:137], v[165:166], v[136:137]
	v_add_f64 v[138:139], v[163:164], v[138:139]
	v_mul_f64 v[163:164], v[140:141], s[18:19]
	v_mul_f64 v[165:166], v[94:95], s[18:19]
	v_add_f64 v[108:109], v[114:115], v[108:109]
	v_mul_f64 v[114:115], v[152:153], s[24:25]
	v_add_f64 v[106:107], v[110:111], v[106:107]
	v_add_f64 v[82:83], v[82:83], v[80:81]
	v_fma_f64 v[80:81], v[134:135], s[26:27], v[247:248]
	v_add_f64 v[163:164], v[177:178], v[163:164]
	v_add_f64 v[165:166], v[165:166], -v[175:176]
	v_mul_f64 v[175:176], v[132:133], s[24:25]
	v_mul_f64 v[177:178], v[86:87], s[24:25]
	v_fma_f64 v[116:117], v[84:85], s[30:31], v[114:115]
	v_fma_f64 v[110:111], v[84:85], s[22:23], v[114:115]
	v_add_f64 v[80:81], v[80:81], v[243:244]
	v_add_f64 v[163:164], v[163:164], v[209:210]
	;; [unrolled: 1-line block ×4, first 2 shown]
	v_add_f64 v[177:178], v[177:178], -v[183:184]
	v_mul_f64 v[183:184], v[152:153], s[26:27]
	v_mul_f64 v[185:186], v[128:129], s[26:27]
	v_add_f64 v[104:105], v[116:117], v[104:105]
	v_mul_f64 v[116:117], v[130:131], s[30:31]
	v_add_f64 v[102:103], v[110:111], v[102:103]
	v_add_f64 v[163:164], v[175:176], v[163:164]
	;; [unrolled: 1-line block ×4, first 2 shown]
	v_add_f64 v[185:186], v[185:186], -v[191:192]
	v_mul_f64 v[191:192], v[142:143], s[12:13]
	v_mul_f64 v[175:176], v[134:135], s[12:13]
	v_fma_f64 v[110:111], v[128:129], s[24:25], v[116:117]
	v_add_f64 v[163:164], v[183:184], v[163:164]
	v_add_f64 v[177:178], v[185:186], v[165:166]
	;; [unrolled: 1-line block ×3, first 2 shown]
	v_add_f64 v[175:176], v[175:176], -v[195:196]
	v_add_f64 v[106:107], v[110:111], v[106:107]
	v_add_f64 v[165:166], v[191:192], v[163:164]
	;; [unrolled: 1-line block ×3, first 2 shown]
	v_mul_f64 v[175:176], v[140:141], s[14:15]
	v_mul_f64 v[177:178], v[128:129], s[18:19]
	v_mul_f64 v[191:192], v[122:123], s[20:21]
	v_add_f64 v[169:170], v[169:170], v[175:176]
	v_mul_f64 v[175:176], v[94:95], s[14:15]
	v_add_f64 v[177:178], v[177:178], -v[179:180]
	v_mul_f64 v[179:180], v[142:143], s[24:25]
	v_add_f64 v[169:170], v[169:170], v[205:206]
	v_add_f64 v[167:168], v[175:176], -v[167:168]
	v_mul_f64 v[175:176], v[132:133], s[26:27]
	v_add_f64 v[179:180], v[189:190], v[179:180]
	v_mul_f64 v[189:190], v[142:143], s[18:19]
	v_add_f64 v[167:168], v[167:168], v[203:204]
	v_add_f64 v[173:174], v[173:174], v[175:176]
	v_mul_f64 v[175:176], v[86:87], s[26:27]
	v_fma_f64 v[112:113], v[126:127], s[36:37], v[189:190]
	v_add_f64 v[169:170], v[173:174], v[169:170]
	v_add_f64 v[171:172], v[175:176], -v[171:172]
	v_mul_f64 v[175:176], v[152:153], s[18:19]
	v_add_f64 v[167:168], v[171:172], v[167:168]
	v_add_f64 v[175:176], v[181:182], v[175:176]
	v_mul_f64 v[171:172], v[134:135], s[24:25]
	v_add_f64 v[167:168], v[177:178], v[167:168]
	v_add_f64 v[169:170], v[175:176], v[169:170]
	v_add_f64 v[171:172], v[171:172], -v[187:188]
	v_mul_f64 v[175:176], v[140:141], s[24:25]
	v_mul_f64 v[177:178], v[118:119], s[22:23]
	v_fma_f64 v[118:119], v[128:129], s[24:25], -v[116:117]
	v_add_f64 v[169:170], v[179:180], v[169:170]
	v_add_f64 v[167:168], v[171:172], v[167:168]
	v_fma_f64 v[171:172], v[96:97], s[22:23], v[175:176]
	v_mul_f64 v[179:180], v[132:133], s[14:15]
	v_fma_f64 v[173:174], v[94:95], s[24:25], -v[177:178]
	v_fma_f64 v[96:97], v[96:97], s[30:31], v[175:176]
	v_fma_f64 v[94:95], v[94:95], s[24:25], v[177:178]
	v_add_f64 v[108:109], v[118:119], v[108:109]
	v_fma_f64 v[118:119], v[134:135], s[18:19], v[191:192]
	v_add_f64 v[171:172], v[171:172], v[227:228]
	;; [unrolled: 2-line block ×4, first 2 shown]
	v_add_f64 v[94:95], v[94:95], v[235:236]
	v_add_f64 v[171:172], v[181:182], v[171:172]
	v_mul_f64 v[181:182], v[120:121], s[38:39]
	v_add_f64 v[92:93], v[92:93], v[96:97]
	v_fma_f64 v[183:184], v[86:87], s[14:15], -v[181:182]
	v_fma_f64 v[86:87], v[86:87], s[14:15], v[181:182]
	v_add_f64 v[173:174], v[183:184], v[173:174]
	v_mul_f64 v[183:184], v[152:153], s[12:13]
	v_add_f64 v[86:87], v[86:87], v[94:95]
	v_mul_f64 v[94:95], v[142:143], s[14:15]
	v_fma_f64 v[185:186], v[84:85], s[0:1], v[183:184]
	v_fma_f64 v[84:85], v[84:85], s[28:29], v[183:184]
	v_fma_f64 v[110:111], v[126:127], s[38:39], v[94:95]
	v_fma_f64 v[94:95], v[126:127], s[6:7], v[94:95]
	v_add_f64 v[171:172], v[185:186], v[171:172]
	v_mul_f64 v[185:186], v[130:131], s[0:1]
	v_add_f64 v[114:115], v[84:85], v[92:93]
	v_mul_f64 v[84:85], v[122:123], s[38:39]
	v_add_f64 v[94:95], v[94:95], v[102:103]
	v_fma_f64 v[187:188], v[128:129], s[12:13], -v[185:186]
	v_fma_f64 v[96:97], v[128:129], s[12:13], v[185:186]
	v_fma_f64 v[92:93], v[134:135], s[14:15], -v[84:85]
	v_fma_f64 v[116:117], v[134:135], s[14:15], v[84:85]
	v_add_f64 v[187:188], v[187:188], v[173:174]
	v_fma_f64 v[173:174], v[126:127], s[20:21], v[189:190]
	v_add_f64 v[96:97], v[96:97], v[86:87]
	v_add_f64 v[86:87], v[110:111], v[104:105]
	v_mov_b32_e32 v110, 0x63
	v_add_f64 v[84:85], v[92:93], v[108:109]
	v_add_f64 v[92:93], v[116:117], v[106:107]
	;; [unrolled: 1-line block ×3, first 2 shown]
	v_mul_u32_u24_sdwa v106, v214, v110 dst_sel:DWORD dst_unused:UNUSED_PAD src0_sel:WORD_0 src1_sel:DWORD
	v_add_f64 v[173:174], v[173:174], v[171:172]
	v_fma_f64 v[171:172], v[134:135], s[18:19], -v[191:192]
	v_add_f64 v[102:103], v[118:119], v[96:97]
	v_add_nc_u32_sdwa v96, v106, v215 dst_sel:DWORD dst_unused:UNUSED_PAD src0_sel:DWORD src1_sel:BYTE_0
	v_lshl_add_u32 v96, v96, 4, v213
	v_add_f64 v[171:172], v[171:172], v[187:188]
	ds_write_b128 v96, v[98:101]
	ds_write_b128 v96, v[167:170] offset:144
	ds_write_b128 v96, v[163:166] offset:288
	;; [unrolled: 1-line block ×10, first 2 shown]
.LBB0_5:
	s_or_b32 exec_lo, exec_lo, s33
	v_add_co_u32 v163, null, 0xc6, v211
	v_mov_b32_e32 v80, 0xa57f
	v_lshlrev_b32_e32 v164, 5, v211
	s_waitcnt lgkmcnt(0)
	s_barrier
	buffer_gl0_inv
	v_mul_u32_u24_sdwa v80, v163, v80 dst_sel:DWORD dst_unused:UNUSED_PAD src0_sel:WORD_0 src1_sel:DWORD
	v_lshlrev_b32_e32 v167, 5, v163
	s_mov_b32 s6, 0xe8584caa
	s_mov_b32 s7, 0x3febb67a
	;; [unrolled: 1-line block ×3, first 2 shown]
	v_lshrrev_b32_e32 v80, 22, v80
	s_mov_b32 s12, s6
	s_mov_b32 s14, 0xa2cf5039
	;; [unrolled: 1-line block ×3, first 2 shown]
	v_mul_lo_u16 v80, 0x63, v80
	v_sub_nc_u16 v169, v163, v80
	v_lshlrev_b16 v80, 5, v169
	v_and_b32_e32 v92, 0xffff, v80
	s_clause 0x1
	global_load_dwordx4 v[84:87], v164, s[2:3] offset:1440
	global_load_dwordx4 v[80:83], v164, s[2:3] offset:1456
	v_add_co_u32 v92, s0, s2, v92
	v_add_co_ci_u32_e64 v93, null, s3, 0, s0
	s_clause 0x1
	global_load_dwordx4 v[96:99], v[92:93], off offset:1440
	global_load_dwordx4 v[92:95], v[92:93], off offset:1456
	ds_read_b128 v[100:103], v212 offset:4752
	ds_read_b128 v[104:107], v212 offset:9504
	;; [unrolled: 1-line block ×7, first 2 shown]
	ds_read_b128 v[130:133], v212
	ds_read_b128 v[134:137], v212 offset:1584
	s_waitcnt vmcnt(0) lgkmcnt(0)
	s_barrier
	buffer_gl0_inv
	v_mul_f64 v[138:139], v[102:103], v[86:87]
	v_mul_f64 v[140:141], v[100:101], v[86:87]
	;; [unrolled: 1-line block ×12, first 2 shown]
	v_fma_f64 v[100:101], v[100:101], v[84:85], -v[138:139]
	v_fma_f64 v[102:103], v[102:103], v[84:85], v[140:141]
	v_fma_f64 v[104:105], v[104:105], v[80:81], -v[142:143]
	v_fma_f64 v[106:107], v[106:107], v[80:81], v[144:145]
	;; [unrolled: 2-line block ×4, first 2 shown]
	v_add_co_u32 v148, s0, s2, v164
	v_add_co_ci_u32_e64 v149, null, s3, 0, s0
	v_fma_f64 v[116:117], v[116:117], v[96:97], -v[154:155]
	v_fma_f64 v[118:119], v[118:119], v[96:97], v[156:157]
	v_fma_f64 v[138:139], v[120:121], v[92:93], -v[158:159]
	v_fma_f64 v[140:141], v[122:123], v[92:93], v[161:162]
	v_add_co_u32 v142, s0, 0x1200, v148
	v_add_nc_u32_e32 v154, 0xc60, v164
	v_add_co_ci_u32_e64 v143, s0, 0, v149, s0
	v_add_co_u32 v148, s0, 0x1000, v148
	v_add_co_ci_u32_e64 v149, s0, 0, v149, s0
	v_add_f64 v[120:121], v[100:101], v[104:105]
	v_add_f64 v[122:123], v[102:103], v[106:107]
	v_add_co_u32 v170, s0, s2, v154
	v_add_f64 v[144:145], v[108:109], v[112:113]
	v_add_f64 v[146:147], v[110:111], v[114:115]
	;; [unrolled: 1-line block ×3, first 2 shown]
	v_add_f64 v[156:157], v[102:103], -v[106:107]
	v_add_f64 v[102:103], v[132:133], v[102:103]
	v_add_f64 v[161:162], v[134:135], v[108:109]
	v_add_f64 v[163:164], v[110:111], -v[114:115]
	v_add_f64 v[150:151], v[116:117], v[138:139]
	v_add_f64 v[152:153], v[118:119], v[140:141]
	;; [unrolled: 1-line block ×3, first 2 shown]
	v_add_f64 v[158:159], v[100:101], -v[104:105]
	v_add_f64 v[165:166], v[108:109], -v[112:113]
	v_add_co_ci_u32_e64 v171, null, s3, 0, s0
	v_add_co_u32 v172, s0, s2, v167
	v_add_co_ci_u32_e64 v173, null, s3, 0, s0
	v_fma_f64 v[120:121], v[120:121], -0.5, v[130:131]
	v_fma_f64 v[122:123], v[122:123], -0.5, v[132:133]
	v_add_co_u32 v167, s0, 0x1200, v170
	v_fma_f64 v[130:131], v[144:145], -0.5, v[134:135]
	v_fma_f64 v[132:133], v[146:147], -0.5, v[136:137]
	v_add_f64 v[134:135], v[126:127], v[116:117]
	v_add_f64 v[144:145], v[128:129], v[118:119]
	v_add_f64 v[136:137], v[118:119], -v[140:141]
	v_add_f64 v[146:147], v[116:117], -v[138:139]
	v_add_f64 v[100:101], v[154:155], v[104:105]
	v_fma_f64 v[150:151], v[150:151], -0.5, v[126:127]
	v_fma_f64 v[152:153], v[152:153], -0.5, v[128:129]
	v_add_f64 v[102:103], v[102:103], v[106:107]
	v_add_f64 v[104:105], v[161:162], v[112:113]
	;; [unrolled: 1-line block ×3, first 2 shown]
	v_add_co_ci_u32_e64 v168, s0, 0, v171, s0
	v_lshl_add_u32 v161, v211, 4, v213
	s_mov_b32 s3, 0x3fe491b7
	s_mov_b32 s2, 0x523c161c
	v_fma_f64 v[108:109], v[156:157], s[6:7], v[120:121]
	v_fma_f64 v[110:111], v[158:159], s[12:13], v[122:123]
	;; [unrolled: 1-line block ×8, first 2 shown]
	v_add_f64 v[126:127], v[134:135], v[138:139]
	v_add_f64 v[128:129], v[144:145], v[140:141]
	v_add_co_u32 v138, s0, 0x1000, v170
	v_fma_f64 v[130:131], v[136:137], s[6:7], v[150:151]
	v_fma_f64 v[132:133], v[146:147], s[12:13], v[152:153]
	;; [unrolled: 1-line block ×4, first 2 shown]
	v_and_b32_e32 v144, 0xffff, v169
	v_add_co_ci_u32_e64 v139, s0, 0, v171, s0
	v_add_co_u32 v140, s0, 0x1200, v172
	v_add_co_ci_u32_e64 v141, s0, 0, v173, s0
	v_lshl_add_u32 v162, v144, 4, v213
	ds_write_b128 v212, v[100:103]
	ds_write_b128 v212, v[104:107] offset:4752
	ds_write_b128 v212, v[108:111] offset:1584
	;; [unrolled: 1-line block ×8, first 2 shown]
	v_add_co_u32 v116, s0, 0x1000, v172
	s_waitcnt lgkmcnt(0)
	s_barrier
	buffer_gl0_inv
	s_clause 0x1
	global_load_dwordx4 v[104:107], v[148:149], off offset:512
	global_load_dwordx4 v[100:103], v[142:143], off offset:16
	v_add_co_ci_u32_e64 v117, s0, 0, v173, s0
	s_clause 0x3
	global_load_dwordx4 v[108:111], v[138:139], off offset:512
	global_load_dwordx4 v[112:115], v[167:168], off offset:16
	;; [unrolled: 1-line block ×4, first 2 shown]
	ds_read_b128 v[126:129], v212 offset:4752
	ds_read_b128 v[130:133], v212 offset:9504
	;; [unrolled: 1-line block ×7, first 2 shown]
	v_add_co_u32 v197, s0, 0x37b0, v216
	v_add_co_ci_u32_e64 v198, s0, 0, v217, s0
	s_waitcnt vmcnt(5) lgkmcnt(6)
	v_mul_f64 v[154:155], v[128:129], v[106:107]
	s_waitcnt vmcnt(4) lgkmcnt(5)
	v_mul_f64 v[156:157], v[132:133], v[102:103]
	v_mul_f64 v[158:159], v[126:127], v[106:107]
	v_mul_f64 v[163:164], v[130:131], v[102:103]
	s_waitcnt vmcnt(3) lgkmcnt(4)
	v_mul_f64 v[165:166], v[136:137], v[110:111]
	s_waitcnt vmcnt(2) lgkmcnt(3)
	v_mul_f64 v[167:168], v[140:141], v[114:115]
	v_mul_f64 v[169:170], v[134:135], v[110:111]
	v_mul_f64 v[171:172], v[138:139], v[114:115]
	;; [unrolled: 6-line block ×3, first 2 shown]
	v_fma_f64 v[154:155], v[126:127], v[104:105], -v[154:155]
	v_fma_f64 v[156:157], v[130:131], v[100:101], -v[156:157]
	v_fma_f64 v[158:159], v[128:129], v[104:105], v[158:159]
	v_fma_f64 v[163:164], v[132:133], v[100:101], v[163:164]
	v_fma_f64 v[134:135], v[134:135], v[108:109], -v[165:166]
	v_fma_f64 v[138:139], v[138:139], v[112:113], -v[167:168]
	v_fma_f64 v[136:137], v[136:137], v[108:109], v[169:170]
	v_fma_f64 v[140:141], v[140:141], v[112:113], v[171:172]
	;; [unrolled: 4-line block ×3, first 2 shown]
	ds_read_b128 v[126:129], v212
	ds_read_b128 v[130:133], v212 offset:1584
	v_add_f64 v[165:166], v[154:155], v[156:157]
	v_add_f64 v[167:168], v[158:159], v[163:164]
	v_add_f64 v[179:180], v[158:159], -v[163:164]
	v_add_f64 v[169:170], v[134:135], v[138:139]
	v_add_f64 v[191:192], v[134:135], -v[138:139]
	v_add_f64 v[171:172], v[136:137], v[140:141]
	s_waitcnt lgkmcnt(2)
	v_add_f64 v[185:186], v[150:151], v[142:143]
	v_add_f64 v[173:174], v[142:143], v[146:147]
	s_waitcnt lgkmcnt(1)
	v_add_f64 v[177:178], v[126:127], v[154:155]
	v_add_f64 v[175:176], v[144:145], v[148:149]
	;; [unrolled: 1-line block ×3, first 2 shown]
	s_waitcnt lgkmcnt(0)
	v_add_f64 v[181:182], v[130:131], v[134:135]
	v_add_f64 v[183:184], v[132:133], v[136:137]
	v_add_f64 v[154:155], v[154:155], -v[156:157]
	v_add_f64 v[187:188], v[152:153], v[144:145]
	v_add_f64 v[189:190], v[136:137], -v[140:141]
	v_add_f64 v[193:194], v[144:145], -v[148:149]
	;; [unrolled: 1-line block ×3, first 2 shown]
	v_fma_f64 v[165:166], v[165:166], -0.5, v[126:127]
	v_fma_f64 v[167:168], v[167:168], -0.5, v[128:129]
	;; [unrolled: 1-line block ×4, first 2 shown]
	v_add_f64 v[134:135], v[185:186], v[146:147]
	v_fma_f64 v[173:174], v[173:174], -0.5, v[150:151]
	v_add_f64 v[126:127], v[177:178], v[156:157]
	v_fma_f64 v[175:176], v[175:176], -0.5, v[152:153]
	v_add_f64 v[128:129], v[158:159], v[163:164]
	v_add_f64 v[130:131], v[181:182], v[138:139]
	;; [unrolled: 1-line block ×3, first 2 shown]
	v_add_co_u32 v158, s0, 0x4000, v216
	v_add_f64 v[136:137], v[187:188], v[148:149]
	v_add_co_ci_u32_e64 v159, s0, 0, v217, s0
	v_fma_f64 v[138:139], v[179:180], s[6:7], v[165:166]
	v_fma_f64 v[142:143], v[179:180], s[12:13], v[165:166]
	v_fma_f64 v[140:141], v[154:155], s[12:13], v[167:168]
	v_fma_f64 v[144:145], v[154:155], s[6:7], v[167:168]
	v_fma_f64 v[146:147], v[189:190], s[6:7], v[169:170]
	v_fma_f64 v[150:151], v[189:190], s[12:13], v[169:170]
	v_fma_f64 v[148:149], v[191:192], s[12:13], v[171:172]
	v_fma_f64 v[152:153], v[191:192], s[6:7], v[171:172]
	v_fma_f64 v[154:155], v[193:194], s[6:7], v[173:174]
	v_fma_f64 v[163:164], v[193:194], s[12:13], v[173:174]
	v_fma_f64 v[156:157], v[195:196], s[12:13], v[175:176]
	v_fma_f64 v[165:166], v[195:196], s[6:7], v[175:176]
	v_add_co_u32 v167, s0, 0x4800, v216
	v_add_co_ci_u32_e64 v168, s0, 0, v217, s0
	v_add_co_u32 v169, s0, 0x5000, v216
	v_add_co_ci_u32_e64 v170, s0, 0, v217, s0
	;; [unrolled: 2-line block ×3, first 2 shown]
	ds_write_b128 v212, v[126:129]
	ds_write_b128 v212, v[130:133] offset:1584
	ds_write_b128 v212, v[138:141] offset:4752
	;; [unrolled: 1-line block ×8, first 2 shown]
	v_add_co_u32 v152, s0, 0x6000, v216
	s_waitcnt lgkmcnt(0)
	s_barrier
	buffer_gl0_inv
	s_clause 0x1
	global_load_dwordx4 v[124:127], v[124:125], off offset:1968
	global_load_dwordx4 v[128:131], v[197:198], off offset:1584
	v_add_co_ci_u32_e64 v153, s0, 0, v217, s0
	v_add_co_u32 v156, s0, 0x6800, v216
	s_clause 0x3
	global_load_dwordx4 v[132:135], v[158:159], off offset:1040
	global_load_dwordx4 v[136:139], v[167:168], off offset:576
	;; [unrolled: 1-line block ×4, first 2 shown]
	v_add_co_ci_u32_e64 v157, s0, 0, v217, s0
	s_clause 0x2
	global_load_dwordx4 v[148:151], v[171:172], off offset:1232
	global_load_dwordx4 v[152:155], v[152:153], off offset:768
	;; [unrolled: 1-line block ×3, first 2 shown]
	ds_read_b128 v[163:166], v212
	ds_read_b128 v[167:170], v212 offset:1584
	ds_read_b128 v[171:174], v212 offset:3168
	;; [unrolled: 1-line block ×8, first 2 shown]
	s_mov_b32 s0, 0x8c811c17
	s_mov_b32 s1, 0x3fef838b
	;; [unrolled: 1-line block ×4, first 2 shown]
	s_waitcnt vmcnt(8) lgkmcnt(8)
	v_mul_f64 v[199:200], v[165:166], v[126:127]
	v_mul_f64 v[126:127], v[163:164], v[126:127]
	s_waitcnt vmcnt(7) lgkmcnt(7)
	v_mul_f64 v[201:202], v[169:170], v[130:131]
	v_mul_f64 v[130:131], v[167:168], v[130:131]
	;; [unrolled: 3-line block ×9, first 2 shown]
	v_fma_f64 v[163:164], v[163:164], v[124:125], -v[199:200]
	v_fma_f64 v[165:166], v[165:166], v[124:125], v[126:127]
	v_fma_f64 v[124:125], v[167:168], v[128:129], -v[201:202]
	v_fma_f64 v[126:127], v[169:170], v[128:129], v[130:131]
	;; [unrolled: 2-line block ×9, first 2 shown]
	ds_write_b128 v212, v[163:166]
	ds_write_b128 v212, v[124:127] offset:1584
	ds_write_b128 v212, v[128:131] offset:3168
	;; [unrolled: 1-line block ×8, first 2 shown]
	s_waitcnt lgkmcnt(0)
	s_barrier
	buffer_gl0_inv
	ds_read_b128 v[124:127], v212 offset:1584
	ds_read_b128 v[128:131], v212 offset:12672
	;; [unrolled: 1-line block ×6, first 2 shown]
	ds_read_b128 v[150:153], v212
	s_waitcnt lgkmcnt(5)
	v_add_f64 v[148:149], v[124:125], -v[128:129]
	v_add_f64 v[154:155], v[126:127], -v[130:131]
	v_add_f64 v[156:157], v[124:125], v[128:129]
	v_add_f64 v[158:159], v[126:127], v[130:131]
	s_waitcnt lgkmcnt(3)
	v_add_f64 v[163:164], v[132:133], v[136:137]
	v_add_f64 v[165:166], v[134:135], v[138:139]
	v_add_f64 v[167:168], v[132:133], -v[136:137]
	v_add_f64 v[169:170], v[134:135], -v[138:139]
	s_waitcnt lgkmcnt(1)
	v_add_f64 v[171:172], v[144:145], v[140:141]
	v_add_f64 v[173:174], v[146:147], v[142:143]
	v_add_f64 v[140:141], v[144:145], -v[140:141]
	v_add_f64 v[142:143], v[146:147], -v[142:143]
	ds_read_b128 v[124:127], v212 offset:4752
	ds_read_b128 v[128:131], v212 offset:9504
	s_waitcnt lgkmcnt(0)
	s_barrier
	buffer_gl0_inv
	v_mul_f64 v[144:145], v[148:149], s[2:3]
	v_mul_f64 v[146:147], v[154:155], s[2:3]
	s_mov_b32 s3, 0xbfe491b7
	v_fma_f64 v[175:176], v[156:157], s[14:15], v[150:151]
	v_fma_f64 v[177:178], v[158:159], s[14:15], v[152:153]
	v_fma_f64 v[179:180], v[163:164], s[14:15], v[150:151]
	v_fma_f64 v[181:182], v[165:166], s[14:15], v[152:153]
	v_mul_f64 v[183:184], v[167:168], s[0:1]
	v_mul_f64 v[185:186], v[169:170], s[0:1]
	v_fma_f64 v[187:188], v[171:172], s[14:15], v[150:151]
	v_fma_f64 v[189:190], v[173:174], s[14:15], v[152:153]
	v_mul_f64 v[191:192], v[169:170], s[2:3]
	v_mul_f64 v[193:194], v[167:168], s[2:3]
	s_mov_b32 s14, 0x7e0b738b
	s_mov_b32 s15, 0x3fc63a1a
	v_add_f64 v[195:196], v[124:125], v[128:129]
	v_add_f64 v[197:198], v[126:127], v[130:131]
	v_add_f64 v[199:200], v[171:172], v[156:157]
	v_add_f64 v[201:202], v[173:174], v[158:159]
	v_add_f64 v[124:125], v[124:125], -v[128:129]
	v_add_f64 v[126:127], v[126:127], -v[130:131]
	v_fma_f64 v[128:129], v[140:141], s[0:1], v[144:145]
	v_fma_f64 v[130:131], v[142:143], s[0:1], v[146:147]
	v_fma_f64 v[144:145], v[171:172], s[14:15], v[175:176]
	v_fma_f64 v[146:147], v[173:174], s[14:15], v[177:178]
	v_fma_f64 v[175:176], v[156:157], s[14:15], v[179:180]
	v_fma_f64 v[177:178], v[158:159], s[14:15], v[181:182]
	v_fma_f64 v[179:180], v[140:141], s[2:3], -v[183:184]
	v_fma_f64 v[181:182], v[142:143], s[2:3], -v[185:186]
	v_fma_f64 v[183:184], v[163:164], s[14:15], v[187:188]
	v_fma_f64 v[185:186], v[165:166], s[14:15], v[189:190]
	;; [unrolled: 1-line block ×4, first 2 shown]
	v_add_f64 v[191:192], v[167:168], v[148:149]
	v_add_f64 v[193:194], v[169:170], v[154:155]
	;; [unrolled: 1-line block ×8, first 2 shown]
	s_mov_b32 s0, 0x748a0bf8
	v_fma_f64 v[128:129], v[124:125], s[6:7], v[128:129]
	v_fma_f64 v[130:131], v[126:127], s[6:7], v[130:131]
	s_mov_b32 s2, 0x42522d1b
	v_fma_f64 v[144:145], v[195:196], -0.5, v[144:145]
	v_fma_f64 v[146:147], v[197:198], -0.5, v[146:147]
	;; [unrolled: 1-line block ×4, first 2 shown]
	v_fma_f64 v[179:180], v[124:125], s[6:7], v[179:180]
	v_fma_f64 v[181:182], v[126:127], s[6:7], v[181:182]
	v_fma_f64 v[183:184], v[195:196], -0.5, v[183:184]
	v_fma_f64 v[185:186], v[197:198], -0.5, v[185:186]
	v_fma_f64 v[126:127], v[126:127], s[12:13], v[187:188]
	v_fma_f64 v[124:125], v[124:125], s[12:13], v[189:190]
	s_mov_b32 s1, 0x3fd5e3a8
	s_mov_b32 s3, 0xbfee11f6
	v_add_f64 v[187:188], v[191:192], -v[140:141]
	v_add_f64 v[189:190], v[193:194], -v[142:143]
	v_fma_f64 v[191:192], v[207:208], -0.5, v[203:204]
	v_fma_f64 v[193:194], v[209:210], -0.5, v[205:206]
	v_add_f64 v[132:133], v[132:133], v[199:200]
	v_add_f64 v[134:135], v[134:135], v[201:202]
	v_fma_f64 v[167:168], v[167:168], s[0:1], v[128:129]
	v_fma_f64 v[169:170], v[169:170], s[0:1], v[130:131]
	;; [unrolled: 1-line block ×12, first 2 shown]
	v_mul_f64 v[175:176], v[187:188], s[6:7]
	v_mul_f64 v[124:125], v[189:190], s[6:7]
	v_fma_f64 v[128:129], v[189:190], s[12:13], v[191:192]
	v_fma_f64 v[130:131], v[187:188], s[6:7], v[193:194]
	v_add_f64 v[126:127], v[136:137], v[132:133]
	v_add_f64 v[177:178], v[138:139], v[134:135]
	v_add_f64 v[136:137], v[144:145], -v[169:170]
	v_add_f64 v[138:139], v[167:168], v[146:147]
	v_add_f64 v[132:133], v[148:149], -v[173:174]
	v_add_f64 v[134:135], v[171:172], v[154:155]
	v_add_f64 v[140:141], v[163:164], -v[156:157]
	v_add_f64 v[142:143], v[158:159], v[165:166]
	v_fma_f64 v[148:149], v[124:125], 2.0, v[128:129]
	v_add_f64 v[124:125], v[150:151], v[126:127]
	v_add_f64 v[126:127], v[152:153], v[177:178]
	v_fma_f64 v[150:151], v[175:176], -2.0, v[130:131]
	v_fma_f64 v[152:153], v[169:170], 2.0, v[136:137]
	v_fma_f64 v[154:155], v[167:168], -2.0, v[138:139]
	v_fma_f64 v[144:145], v[173:174], 2.0, v[132:133]
	;; [unrolled: 2-line block ×3, first 2 shown]
	v_fma_f64 v[158:159], v[158:159], -2.0, v[142:143]
	ds_write_b128 v218, v[128:131] offset:48
	ds_write_b128 v218, v[124:127]
	ds_write_b128 v218, v[136:139] offset:16
	ds_write_b128 v218, v[132:135] offset:64
	;; [unrolled: 1-line block ×7, first 2 shown]
	s_waitcnt lgkmcnt(0)
	s_barrier
	buffer_gl0_inv
	s_and_saveexec_b32 s0, vcc_lo
	s_cbranch_execz .LBB0_7
; %bb.6:
	ds_read_b128 v[124:127], v212
	ds_read_b128 v[136:139], v212 offset:1296
	ds_read_b128 v[140:143], v212 offset:2592
	;; [unrolled: 1-line block ×10, first 2 shown]
.LBB0_7:
	s_or_b32 exec_lo, exec_lo, s0
	v_add_nc_u32_e32 v163, 0xc60, v212
	s_waitcnt lgkmcnt(0)
	s_barrier
	buffer_gl0_inv
	s_and_saveexec_b32 s33, vcc_lo
	s_cbranch_execz .LBB0_9
; %bb.8:
	v_mul_f64 v[164:165], v[38:39], v[138:139]
	v_mul_f64 v[166:167], v[74:75], v[90:91]
	;; [unrolled: 1-line block ×15, first 2 shown]
	s_mov_b32 s22, 0xfd768dbf
	s_mov_b32 s23, 0xbfd207e7
	;; [unrolled: 1-line block ×7, first 2 shown]
	v_fma_f64 v[136:137], v[36:37], v[136:137], v[164:165]
	v_fma_f64 v[38:39], v[72:73], v[88:89], v[166:167]
	v_fma_f64 v[88:89], v[36:37], v[138:139], -v[168:169]
	v_fma_f64 v[36:37], v[72:73], v[90:91], -v[74:75]
	v_mul_f64 v[72:73], v[50:51], v[132:133]
	v_mul_f64 v[74:75], v[42:43], v[130:131]
	;; [unrolled: 1-line block ×5, first 2 shown]
	v_fma_f64 v[140:141], v[64:65], v[140:141], v[178:179]
	v_fma_f64 v[42:43], v[68:69], v[76:77], v[180:181]
	v_fma_f64 v[64:65], v[64:65], v[142:143], -v[66:67]
	v_fma_f64 v[46:47], v[68:69], v[78:79], -v[70:71]
	v_fma_f64 v[70:71], v[60:61], v[144:145], v[170:171]
	v_fma_f64 v[76:77], v[56:57], v[148:149], v[172:173]
	v_fma_f64 v[60:61], v[60:61], v[146:147], -v[62:63]
	v_fma_f64 v[56:57], v[56:57], v[150:151], -v[58:59]
	v_fma_f64 v[58:59], v[48:49], v[132:133], v[174:175]
	v_fma_f64 v[50:51], v[52:53], v[156:157], v[176:177]
	s_mov_b32 s19, 0xbfeeb42a
	s_mov_b32 s2, 0x7f775887
	;; [unrolled: 1-line block ×4, first 2 shown]
	v_add_f64 v[66:67], v[136:137], -v[38:39]
	s_mov_b32 s15, 0x3feaeb8c
	v_add_f64 v[68:69], v[88:89], -v[36:37]
	v_fma_f64 v[62:63], v[48:49], v[134:135], -v[72:73]
	v_fma_f64 v[72:73], v[52:53], v[158:159], -v[54:55]
	v_fma_f64 v[52:53], v[40:41], v[128:129], v[74:75]
	v_fma_f64 v[48:49], v[44:45], v[152:153], v[90:91]
	v_fma_f64 v[54:55], v[40:41], v[130:131], -v[138:139]
	v_fma_f64 v[40:41], v[44:45], v[154:155], -v[164:165]
	v_add_f64 v[44:45], v[140:141], -v[42:43]
	v_add_f64 v[74:75], v[88:89], v[36:37]
	v_add_f64 v[78:79], v[64:65], -v[46:47]
	v_add_f64 v[90:91], v[136:137], v[38:39]
	v_add_f64 v[150:151], v[64:65], v[46:47]
	;; [unrolled: 1-line block ×3, first 2 shown]
	s_mov_b32 s27, 0x3fefac9e
	s_mov_b32 s26, s16
	v_add_f64 v[134:135], v[58:59], -v[50:51]
	v_add_f64 v[88:89], v[126:127], v[88:89]
	v_add_f64 v[136:137], v[124:125], v[136:137]
	s_mov_b32 s0, 0x640f44db
	s_mov_b32 s1, 0xbfc2375f
	v_mul_f64 v[128:129], v[66:67], s[22:23]
	v_mul_f64 v[180:181], v[66:67], s[12:13]
	;; [unrolled: 1-line block ×4, first 2 shown]
	v_add_f64 v[144:145], v[62:63], -v[72:73]
	v_mul_f64 v[216:217], v[66:67], s[16:17]
	v_add_f64 v[138:139], v[52:53], -v[48:49]
	v_add_f64 v[174:175], v[52:53], v[48:49]
	v_add_f64 v[146:147], v[54:55], -v[40:41]
	v_mul_f64 v[154:155], v[44:45], s[6:7]
	v_add_f64 v[164:165], v[54:55], v[40:41]
	v_mul_f64 v[156:157], v[78:79], s[6:7]
	v_mul_f64 v[202:203], v[44:45], s[26:27]
	;; [unrolled: 1-line block ×3, first 2 shown]
	s_mov_b32 s25, 0x3fed1bb4
	s_mov_b32 s24, 0x8eee2c13
	;; [unrolled: 1-line block ×4, first 2 shown]
	v_add_f64 v[132:133], v[70:71], -v[76:77]
	v_add_f64 v[142:143], v[60:61], -v[56:57]
	v_add_f64 v[158:159], v[62:63], v[72:73]
	v_add_f64 v[172:173], v[58:59], v[50:51]
	v_fma_f64 v[166:167], v[74:75], s[18:19], v[128:129]
	v_fma_f64 v[128:129], v[74:75], s[18:19], -v[128:129]
	v_fma_f64 v[168:169], v[90:91], s[18:19], -v[130:131]
	v_fma_f64 v[130:131], v[90:91], s[18:19], v[130:131]
	v_fma_f64 v[222:223], v[74:75], s[2:3], v[180:181]
	v_mul_f64 v[178:179], v[134:135], s[24:25]
	v_mul_f64 v[182:183], v[138:139], s[12:13]
	;; [unrolled: 1-line block ×4, first 2 shown]
	v_fma_f64 v[198:199], v[150:151], s[14:15], v[154:155]
	v_mul_f64 v[218:219], v[78:79], s[26:27]
	v_fma_f64 v[200:201], v[152:153], s[14:15], -v[156:157]
	v_mul_f64 v[226:227], v[44:45], s[30:31]
	v_fma_f64 v[234:235], v[90:91], s[2:3], -v[192:193]
	v_fma_f64 v[154:155], v[150:151], s[14:15], -v[154:155]
	v_fma_f64 v[156:157], v[152:153], s[14:15], v[156:157]
	v_fma_f64 v[180:181], v[74:75], s[2:3], -v[180:181]
	v_fma_f64 v[192:193], v[90:91], s[2:3], v[192:193]
	v_add_f64 v[64:65], v[88:89], v[64:65]
	v_fma_f64 v[88:89], v[74:75], s[0:1], v[216:217]
	v_add_f64 v[136:137], v[136:137], v[140:141]
	v_fma_f64 v[140:141], v[150:151], s[0:1], v[202:203]
	v_add_f64 v[166:167], v[126:127], v[166:167]
	v_add_f64 v[128:129], v[126:127], v[128:129]
	v_add_f64 v[168:169], v[124:125], v[168:169]
	;; [unrolled: 1-line block ×4, first 2 shown]
	v_fma_f64 v[242:243], v[90:91], s[0:1], -v[230:231]
	v_fma_f64 v[232:233], v[164:165], s[2:3], v[182:183]
	s_mov_b32 s20, 0xd9c712b6
	v_fma_f64 v[236:237], v[174:175], s[2:3], -v[188:189]
	s_mov_b32 s21, 0x3fda9628
	s_mov_b32 s29, 0xbfe14ced
	;; [unrolled: 1-line block ×3, first 2 shown]
	v_add_f64 v[148:149], v[60:61], v[56:57]
	v_add_f64 v[170:171], v[70:71], v[76:77]
	v_mul_f64 v[176:177], v[132:133], s[16:17]
	v_mul_f64 v[184:185], v[142:143], s[16:17]
	v_mul_f64 v[196:197], v[138:139], s[28:29]
	v_mul_f64 v[208:209], v[146:147], s[28:29]
	v_mul_f64 v[224:225], v[138:139], s[24:25]
	v_fma_f64 v[238:239], v[158:159], s[20:21], v[178:179]
	v_fma_f64 v[240:241], v[172:173], s[20:21], -v[186:187]
	v_fma_f64 v[244:245], v[152:153], s[0:1], -v[218:219]
	v_add_f64 v[166:167], v[198:199], v[166:167]
	v_mul_f64 v[198:199], v[146:147], s[24:25]
	v_add_f64 v[168:169], v[200:201], v[168:169]
	v_mul_f64 v[200:201], v[78:79], s[30:31]
	v_add_f64 v[234:235], v[124:125], v[234:235]
	v_fma_f64 v[188:189], v[174:175], s[2:3], v[188:189]
	v_fma_f64 v[202:203], v[150:151], s[0:1], -v[202:203]
	v_fma_f64 v[218:219], v[152:153], s[0:1], v[218:219]
	v_add_f64 v[180:181], v[126:127], v[180:181]
	v_add_f64 v[128:129], v[154:155], v[128:129]
	;; [unrolled: 1-line block ×8, first 2 shown]
	v_mul_f64 v[194:195], v[134:135], s[22:23]
	v_mul_f64 v[206:207], v[144:145], s[22:23]
	;; [unrolled: 1-line block ×3, first 2 shown]
	v_fma_f64 v[186:187], v[172:173], s[20:21], v[186:187]
	v_fma_f64 v[246:247], v[174:175], s[14:15], -v[208:209]
	v_fma_f64 v[208:209], v[174:175], s[14:15], v[208:209]
	v_add_f64 v[154:155], v[232:233], v[166:167]
	v_add_f64 v[166:167], v[124:125], v[192:193]
	;; [unrolled: 1-line block ×3, first 2 shown]
	v_fma_f64 v[232:233], v[150:151], s[18:19], v[226:227]
	v_fma_f64 v[222:223], v[152:153], s[18:19], -v[200:201]
	v_fma_f64 v[168:169], v[148:149], s[0:1], v[176:177]
	v_fma_f64 v[192:193], v[170:171], s[0:1], -v[184:185]
	v_fma_f64 v[236:237], v[164:165], s[14:15], v[196:197]
	v_add_f64 v[234:235], v[244:245], v[234:235]
	v_fma_f64 v[196:197], v[164:165], s[14:15], -v[196:197]
	v_fma_f64 v[216:217], v[74:75], s[0:1], -v[216:217]
	v_add_f64 v[180:181], v[202:203], v[180:181]
	v_add_f64 v[130:131], v[188:189], v[130:131]
	v_fma_f64 v[188:189], v[164:165], s[20:21], v[224:225]
	v_mul_f64 v[190:191], v[132:133], s[24:25]
	v_mul_f64 v[204:205], v[142:143], s[24:25]
	s_mov_b32 s25, 0xbfed1bb4
	v_add_f64 v[62:63], v[64:65], v[62:63]
	v_add_f64 v[58:59], v[136:137], v[58:59]
	v_mul_f64 v[220:221], v[134:135], s[28:29]
	v_fma_f64 v[182:183], v[164:165], s[2:3], -v[182:183]
	v_fma_f64 v[202:203], v[158:159], s[18:19], v[194:195]
	v_add_f64 v[154:155], v[238:239], v[154:155]
	v_add_f64 v[166:167], v[218:219], v[166:167]
	;; [unrolled: 1-line block ×4, first 2 shown]
	v_fma_f64 v[232:233], v[174:175], s[20:21], -v[198:199]
	v_add_f64 v[222:223], v[222:223], v[242:243]
	v_fma_f64 v[218:219], v[172:173], s[18:19], -v[206:207]
	v_add_f64 v[140:141], v[236:237], v[140:141]
	v_fma_f64 v[194:195], v[158:159], s[18:19], -v[194:195]
	v_fma_f64 v[206:207], v[172:173], s[18:19], v[206:207]
	v_fma_f64 v[226:227], v[150:151], s[18:19], -v[226:227]
	v_add_f64 v[234:235], v[246:247], v[234:235]
	v_add_f64 v[216:217], v[126:127], v[216:217]
	;; [unrolled: 1-line block ×4, first 2 shown]
	v_mul_f64 v[186:187], v[66:67], s[24:25]
	v_mul_f64 v[66:67], v[66:67], s[28:29]
	;; [unrolled: 1-line block ×3, first 2 shown]
	v_add_f64 v[60:61], v[62:63], v[60:61]
	v_add_f64 v[58:59], v[58:59], v[70:71]
	;; [unrolled: 1-line block ×3, first 2 shown]
	v_fma_f64 v[182:183], v[170:171], s[0:1], v[184:185]
	v_add_f64 v[54:55], v[168:169], v[154:155]
	v_add_f64 v[154:155], v[208:209], v[166:167]
	v_add_f64 v[52:53], v[192:193], v[156:157]
	v_fma_f64 v[166:167], v[90:91], s[0:1], v[230:231]
	v_add_f64 v[88:89], v[188:189], v[88:89]
	v_fma_f64 v[188:189], v[172:173], s[14:15], -v[228:229]
	v_mul_f64 v[192:193], v[68:69], s[24:25]
	v_add_f64 v[196:197], v[232:233], v[222:223]
	v_fma_f64 v[184:185], v[148:149], s[20:21], v[190:191]
	v_fma_f64 v[168:169], v[158:159], s[14:15], v[220:221]
	v_add_f64 v[140:141], v[202:203], v[140:141]
	v_fma_f64 v[202:203], v[170:171], s[20:21], -v[204:205]
	v_add_f64 v[208:209], v[218:219], v[234:235]
	v_fma_f64 v[218:219], v[164:165], s[20:21], -v[224:225]
	;; [unrolled: 2-line block ×3, first 2 shown]
	v_add_f64 v[180:181], v[194:195], v[180:181]
	v_fma_f64 v[190:191], v[170:171], s[20:21], v[204:205]
	v_fma_f64 v[194:195], v[152:153], s[18:19], v[200:201]
	v_mul_f64 v[204:205], v[44:45], s[12:13]
	v_mul_f64 v[216:217], v[78:79], s[12:13]
	;; [unrolled: 1-line block ×4, first 2 shown]
	v_add_f64 v[154:155], v[206:207], v[154:155]
	v_fma_f64 v[206:207], v[74:75], s[20:21], -v[186:187]
	v_add_f64 v[166:167], v[124:125], v[166:167]
	v_fma_f64 v[62:63], v[90:91], s[14:15], v[64:65]
	v_fma_f64 v[186:187], v[74:75], s[20:21], v[186:187]
	;; [unrolled: 1-line block ×3, first 2 shown]
	v_add_f64 v[188:189], v[188:189], v[196:197]
	v_fma_f64 v[196:197], v[158:159], s[14:15], -v[220:221]
	v_fma_f64 v[220:221], v[74:75], s[14:15], -v[66:67]
	;; [unrolled: 1-line block ×3, first 2 shown]
	v_fma_f64 v[66:67], v[74:75], s[14:15], v[66:67]
	v_fma_f64 v[64:65], v[90:91], s[14:15], -v[64:65]
	v_add_f64 v[56:57], v[60:61], v[56:57]
	v_add_f64 v[58:59], v[58:59], v[76:77]
	;; [unrolled: 1-line block ×3, first 2 shown]
	v_mul_f64 v[74:75], v[138:139], s[30:31]
	v_mul_f64 v[90:91], v[146:147], s[30:31]
	;; [unrolled: 1-line block ×4, first 2 shown]
	v_fma_f64 v[218:219], v[152:153], s[2:3], v[216:217]
	v_fma_f64 v[224:225], v[150:151], s[20:21], -v[44:45]
	v_fma_f64 v[226:227], v[152:153], s[20:21], v[78:79]
	v_fma_f64 v[76:77], v[150:151], s[2:3], v[204:205]
	v_add_f64 v[206:207], v[126:127], v[206:207]
	v_add_f64 v[166:167], v[194:195], v[166:167]
	v_fma_f64 v[194:195], v[150:151], s[2:3], -v[204:205]
	v_add_f64 v[60:61], v[124:125], v[62:63]
	v_add_f64 v[222:223], v[124:125], v[222:223]
	;; [unrolled: 1-line block ×3, first 2 shown]
	v_fma_f64 v[204:205], v[152:153], s[2:3], -v[216:217]
	v_add_f64 v[220:221], v[126:127], v[220:221]
	v_add_f64 v[192:193], v[124:125], v[192:193]
	v_fma_f64 v[44:45], v[150:151], s[20:21], v[44:45]
	v_add_f64 v[66:67], v[126:127], v[66:67]
	v_fma_f64 v[78:79], v[152:153], s[20:21], -v[78:79]
	v_add_f64 v[64:65], v[124:125], v[64:65]
	v_add_f64 v[56:57], v[56:57], v[72:73]
	v_add_f64 v[50:51], v[58:59], v[50:51]
	v_fma_f64 v[178:179], v[158:159], s[20:21], -v[178:179]
	v_mul_f64 v[62:63], v[134:135], s[26:27]
	v_mul_f64 v[124:125], v[144:145], s[26:27]
	v_fma_f64 v[126:127], v[164:165], s[18:19], -v[74:75]
	v_fma_f64 v[152:153], v[174:175], s[18:19], v[90:91]
	v_mul_f64 v[134:135], v[134:135], s[12:13]
	v_mul_f64 v[144:145], v[144:145], s[12:13]
	v_fma_f64 v[198:199], v[174:175], s[20:21], v[198:199]
	v_fma_f64 v[72:73], v[164:165], s[18:19], v[74:75]
	v_add_f64 v[150:151], v[194:195], v[206:207]
	v_fma_f64 v[206:207], v[164:165], s[0:1], -v[138:139]
	v_add_f64 v[194:195], v[218:219], v[222:223]
	v_fma_f64 v[218:219], v[174:175], s[0:1], v[146:147]
	v_add_f64 v[58:59], v[226:227], v[60:61]
	v_add_f64 v[216:217], v[224:225], v[220:221]
	;; [unrolled: 1-line block ×3, first 2 shown]
	v_fma_f64 v[76:77], v[174:175], s[18:19], -v[90:91]
	v_add_f64 v[90:91], v[204:205], v[192:193]
	v_fma_f64 v[138:139], v[164:165], s[0:1], v[138:139]
	v_add_f64 v[44:45], v[44:45], v[66:67]
	v_fma_f64 v[66:67], v[174:175], s[0:1], -v[146:147]
	v_add_f64 v[64:65], v[78:79], v[64:65]
	v_mul_f64 v[156:157], v[132:133], s[12:13]
	v_add_f64 v[40:41], v[56:57], v[40:41]
	v_add_f64 v[48:49], v[50:51], v[48:49]
	;; [unrolled: 1-line block ×3, first 2 shown]
	v_mul_f64 v[178:179], v[142:143], s[12:13]
	v_mul_f64 v[60:61], v[132:133], s[6:7]
	;; [unrolled: 1-line block ×3, first 2 shown]
	v_fma_f64 v[146:147], v[158:159], s[0:1], -v[62:63]
	v_mul_f64 v[132:133], v[132:133], s[22:23]
	v_add_f64 v[126:127], v[126:127], v[150:151]
	v_fma_f64 v[150:151], v[172:173], s[0:1], v[124:125]
	v_add_f64 v[152:153], v[152:153], v[194:195]
	v_mul_f64 v[142:143], v[142:143], s[22:23]
	v_fma_f64 v[164:165], v[158:159], s[2:3], -v[134:135]
	v_add_f64 v[174:175], v[206:207], v[216:217]
	v_fma_f64 v[186:187], v[172:173], s[2:3], v[144:145]
	v_add_f64 v[50:51], v[218:219], v[58:59]
	v_fma_f64 v[70:71], v[172:173], s[14:15], v[228:229]
	;; [unrolled: 2-line block ×3, first 2 shown]
	v_add_f64 v[62:63], v[72:73], v[74:75]
	v_fma_f64 v[72:73], v[172:173], s[0:1], -v[124:125]
	v_add_f64 v[74:75], v[76:77], v[90:91]
	v_fma_f64 v[76:77], v[158:159], s[2:3], v[134:135]
	v_add_f64 v[44:45], v[138:139], v[44:45]
	v_fma_f64 v[90:91], v[172:173], s[2:3], -v[144:145]
	v_add_f64 v[64:65], v[66:67], v[64:65]
	v_fma_f64 v[200:201], v[148:149], s[2:3], v[156:157]
	v_fma_f64 v[66:67], v[148:149], s[2:3], -v[156:157]
	v_add_f64 v[68:69], v[196:197], v[68:69]
	v_add_f64 v[156:157], v[40:41], v[46:47]
	;; [unrolled: 1-line block ×5, first 2 shown]
	v_fma_f64 v[146:147], v[148:149], s[18:19], -v[132:133]
	v_fma_f64 v[152:153], v[170:171], s[18:19], v[142:143]
	v_add_f64 v[150:151], v[164:165], v[174:175]
	v_fma_f64 v[134:135], v[148:149], s[14:15], -v[60:61]
	v_add_f64 v[164:165], v[186:187], v[50:51]
	v_fma_f64 v[138:139], v[170:171], s[14:15], v[78:79]
	v_fma_f64 v[124:125], v[170:171], s[2:3], v[178:179]
	v_add_f64 v[56:57], v[70:71], v[56:57]
	v_fma_f64 v[176:177], v[148:149], s[0:1], -v[176:177]
	v_add_f64 v[88:89], v[168:169], v[88:89]
	v_fma_f64 v[168:169], v[170:171], s[2:3], -v[178:179]
	v_fma_f64 v[166:167], v[148:149], s[14:15], v[60:61]
	v_add_f64 v[172:173], v[58:59], v[62:63]
	v_fma_f64 v[78:79], v[170:171], s[14:15], -v[78:79]
	v_add_f64 v[72:73], v[72:73], v[74:75]
	v_fma_f64 v[132:133], v[148:149], s[18:19], v[132:133]
	v_add_f64 v[76:77], v[76:77], v[44:45]
	v_fma_f64 v[142:143], v[170:171], s[18:19], -v[142:143]
	v_add_f64 v[90:91], v[90:91], v[64:65]
	v_add_f64 v[58:59], v[66:67], v[68:69]
	;; [unrolled: 1-line block ×10, first 2 shown]
	v_mov_b32_e32 v126, 0x63
	v_add_f64 v[56:57], v[124:125], v[56:57]
	v_add_f64 v[42:43], v[176:177], v[128:129]
	;; [unrolled: 1-line block ×6, first 2 shown]
	v_mul_u32_u24_sdwa v88, v214, v126 dst_sel:DWORD dst_unused:UNUSED_PAD src0_sel:WORD_0 src1_sel:DWORD
	v_add_f64 v[36:37], v[168:169], v[188:189]
	v_add_f64 v[74:75], v[166:167], v[172:173]
	;; [unrolled: 1-line block ×5, first 2 shown]
	v_add_nc_u32_sdwa v88, v88, v215 dst_sel:DWORD dst_unused:UNUSED_PAD src0_sel:DWORD src1_sel:BYTE_0
	v_lshl_add_u32 v88, v88, 4, v213
	ds_write_b128 v88, v[68:71]
	ds_write_b128 v88, v[64:67] offset:144
	ds_write_b128 v88, v[60:63] offset:288
	;; [unrolled: 1-line block ×10, first 2 shown]
.LBB0_9:
	s_or_b32 exec_lo, exec_lo, s33
	s_waitcnt lgkmcnt(0)
	s_barrier
	buffer_gl0_inv
	ds_read_b128 v[36:39], v212 offset:4752
	ds_read_b128 v[40:43], v212 offset:9504
	ds_read_b128 v[44:47], v212 offset:6336
	ds_read_b128 v[48:51], v212 offset:11088
	ds_read_b128 v[52:55], v212 offset:7920
	ds_read_b128 v[56:59], v212 offset:12672
	ds_read_b128 v[60:63], v212 offset:3168
	s_mov_b32 s0, 0xe8584caa
	s_mov_b32 s1, 0xbfebb67a
	;; [unrolled: 1-line block ×6, first 2 shown]
	s_waitcnt lgkmcnt(6)
	v_mul_f64 v[64:65], v[86:87], v[38:39]
	s_waitcnt lgkmcnt(5)
	v_mul_f64 v[66:67], v[82:83], v[42:43]
	v_mul_f64 v[68:69], v[86:87], v[36:37]
	v_mul_f64 v[70:71], v[82:83], v[40:41]
	s_waitcnt lgkmcnt(4)
	v_mul_f64 v[72:73], v[86:87], v[46:47]
	s_waitcnt lgkmcnt(3)
	v_mul_f64 v[74:75], v[82:83], v[50:51]
	v_mul_f64 v[76:77], v[86:87], v[44:45]
	v_mul_f64 v[78:79], v[82:83], v[48:49]
	s_waitcnt lgkmcnt(2)
	v_mul_f64 v[82:83], v[98:99], v[54:55]
	s_waitcnt lgkmcnt(1)
	v_mul_f64 v[86:87], v[94:95], v[58:59]
	v_mul_f64 v[88:89], v[98:99], v[52:53]
	v_mul_f64 v[90:91], v[94:95], v[56:57]
	v_fma_f64 v[64:65], v[84:85], v[36:37], v[64:65]
	v_fma_f64 v[66:67], v[80:81], v[40:41], v[66:67]
	v_fma_f64 v[68:69], v[84:85], v[38:39], -v[68:69]
	v_fma_f64 v[70:71], v[80:81], v[42:43], -v[70:71]
	v_fma_f64 v[44:45], v[84:85], v[44:45], v[72:73]
	v_fma_f64 v[48:49], v[80:81], v[48:49], v[74:75]
	v_fma_f64 v[46:47], v[84:85], v[46:47], -v[76:77]
	v_fma_f64 v[50:51], v[80:81], v[50:51], -v[78:79]
	;; [unrolled: 4-line block ×3, first 2 shown]
	ds_read_b128 v[36:39], v212
	ds_read_b128 v[40:43], v212 offset:1584
	s_waitcnt lgkmcnt(0)
	s_barrier
	buffer_gl0_inv
	v_add_f64 v[72:73], v[64:65], v[66:67]
	v_add_f64 v[74:75], v[68:69], v[70:71]
	v_add_f64 v[86:87], v[68:69], -v[70:71]
	v_add_f64 v[76:77], v[44:45], v[48:49]
	v_add_f64 v[98:99], v[44:45], -v[48:49]
	v_add_f64 v[78:79], v[46:47], v[50:51]
	v_add_f64 v[92:93], v[60:61], v[52:53]
	;; [unrolled: 1-line block ×8, first 2 shown]
	v_add_f64 v[64:65], v[64:65], -v[66:67]
	v_add_f64 v[94:95], v[62:63], v[54:55]
	v_add_f64 v[96:97], v[46:47], -v[50:51]
	v_add_f64 v[124:125], v[54:55], -v[58:59]
	;; [unrolled: 1-line block ×3, first 2 shown]
	v_fma_f64 v[72:73], v[72:73], -0.5, v[36:37]
	v_fma_f64 v[74:75], v[74:75], -0.5, v[38:39]
	;; [unrolled: 1-line block ×4, first 2 shown]
	v_add_f64 v[44:45], v[92:93], v[56:57]
	v_fma_f64 v[80:81], v[80:81], -0.5, v[60:61]
	v_add_f64 v[36:37], v[84:85], v[66:67]
	v_fma_f64 v[82:83], v[82:83], -0.5, v[62:63]
	v_add_f64 v[38:39], v[68:69], v[70:71]
	v_add_f64 v[40:41], v[88:89], v[48:49]
	;; [unrolled: 1-line block ×4, first 2 shown]
	v_fma_f64 v[48:49], v[86:87], s[0:1], v[72:73]
	v_fma_f64 v[52:53], v[86:87], s[2:3], v[72:73]
	v_fma_f64 v[50:51], v[64:65], s[2:3], v[74:75]
	v_fma_f64 v[54:55], v[64:65], s[0:1], v[74:75]
	v_fma_f64 v[56:57], v[96:97], s[0:1], v[76:77]
	v_fma_f64 v[60:61], v[96:97], s[2:3], v[76:77]
	v_fma_f64 v[58:59], v[98:99], s[2:3], v[78:79]
	v_fma_f64 v[62:63], v[98:99], s[0:1], v[78:79]
	v_fma_f64 v[64:65], v[124:125], s[0:1], v[80:81]
	v_fma_f64 v[68:69], v[124:125], s[2:3], v[80:81]
	v_fma_f64 v[66:67], v[126:127], s[2:3], v[82:83]
	v_fma_f64 v[70:71], v[126:127], s[0:1], v[82:83]
	ds_write_b128 v212, v[36:39]
	ds_write_b128 v212, v[40:43] offset:4752
	ds_write_b128 v212, v[48:51] offset:1584
	ds_write_b128 v212, v[52:55] offset:3168
	ds_write_b128 v212, v[56:59] offset:6336
	ds_write_b128 v212, v[60:63] offset:7920
	ds_write_b128 v162, v[44:47] offset:9504
	ds_write_b128 v162, v[64:67] offset:11088
	ds_write_b128 v162, v[68:71] offset:12672
	s_waitcnt lgkmcnt(0)
	s_barrier
	buffer_gl0_inv
	ds_read_b128 v[36:39], v212 offset:4752
	ds_read_b128 v[40:43], v212 offset:9504
	;; [unrolled: 1-line block ×7, first 2 shown]
	s_waitcnt lgkmcnt(6)
	v_mul_f64 v[64:65], v[106:107], v[38:39]
	v_mul_f64 v[66:67], v[106:107], v[36:37]
	s_waitcnt lgkmcnt(5)
	v_mul_f64 v[68:69], v[102:103], v[42:43]
	v_mul_f64 v[70:71], v[102:103], v[40:41]
	s_waitcnt lgkmcnt(4)
	v_mul_f64 v[72:73], v[110:111], v[46:47]
	s_waitcnt lgkmcnt(3)
	v_mul_f64 v[74:75], v[114:115], v[50:51]
	v_mul_f64 v[76:77], v[110:111], v[44:45]
	;; [unrolled: 1-line block ×3, first 2 shown]
	s_waitcnt lgkmcnt(2)
	v_mul_f64 v[80:81], v[118:119], v[54:55]
	s_waitcnt lgkmcnt(1)
	v_mul_f64 v[82:83], v[122:123], v[58:59]
	v_mul_f64 v[84:85], v[118:119], v[52:53]
	;; [unrolled: 1-line block ×3, first 2 shown]
	v_fma_f64 v[64:65], v[104:105], v[36:37], v[64:65]
	v_fma_f64 v[66:67], v[104:105], v[38:39], -v[66:67]
	v_fma_f64 v[68:69], v[100:101], v[40:41], v[68:69]
	v_fma_f64 v[70:71], v[100:101], v[42:43], -v[70:71]
	v_fma_f64 v[44:45], v[108:109], v[44:45], v[72:73]
	v_fma_f64 v[48:49], v[112:113], v[48:49], v[74:75]
	v_fma_f64 v[46:47], v[108:109], v[46:47], -v[76:77]
	v_fma_f64 v[50:51], v[112:113], v[50:51], -v[78:79]
	v_fma_f64 v[52:53], v[116:117], v[52:53], v[80:81]
	v_fma_f64 v[56:57], v[120:121], v[56:57], v[82:83]
	v_fma_f64 v[54:55], v[116:117], v[54:55], -v[84:85]
	v_fma_f64 v[58:59], v[120:121], v[58:59], -v[86:87]
	v_mad_u64_u32 v[72:73], null, s10, v160, 0
	v_mad_u64_u32 v[74:75], null, s8, v211, 0
	ds_read_b128 v[36:39], v212
	ds_read_b128 v[40:43], v212 offset:1584
	v_mad_u64_u32 v[82:83], null, s11, v160, v[73:74]
	v_add_f64 v[76:77], v[64:65], v[68:69]
	v_add_f64 v[78:79], v[66:67], v[70:71]
	v_mov_b32_e32 v73, v75
	v_add_f64 v[80:81], v[44:45], v[48:49]
	v_add_f64 v[92:93], v[66:67], -v[70:71]
	v_add_f64 v[83:84], v[46:47], v[50:51]
	s_waitcnt lgkmcnt(2)
	v_add_f64 v[98:99], v[60:61], v[52:53]
	v_add_f64 v[85:86], v[52:53], v[56:57]
	v_mad_u64_u32 v[89:90], null, s9, v211, v[73:74]
	v_add_f64 v[87:88], v[54:55], v[58:59]
	v_mov_b32_e32 v73, v82
	s_waitcnt lgkmcnt(1)
	v_add_f64 v[90:91], v[36:37], v[64:65]
	v_add_f64 v[66:67], v[38:39], v[66:67]
	s_waitcnt lgkmcnt(0)
	v_add_f64 v[94:95], v[40:41], v[44:45]
	v_add_f64 v[96:97], v[42:43], v[46:47]
	v_add_f64 v[64:65], v[64:65], -v[68:69]
	v_add_f64 v[100:101], v[62:63], v[54:55]
	v_add_f64 v[102:103], v[46:47], -v[50:51]
	v_add_f64 v[104:105], v[44:45], -v[48:49]
	;; [unrolled: 1-line block ×4, first 2 shown]
	v_fma_f64 v[76:77], v[76:77], -0.5, v[36:37]
	v_fma_f64 v[78:79], v[78:79], -0.5, v[38:39]
	v_mov_b32_e32 v75, v89
	v_fma_f64 v[80:81], v[80:81], -0.5, v[40:41]
	v_lshlrev_b64 v[72:73], 4, v[72:73]
	v_fma_f64 v[82:83], v[83:84], -0.5, v[42:43]
	v_add_f64 v[44:45], v[98:99], v[56:57]
	v_fma_f64 v[84:85], v[85:86], -0.5, v[60:61]
	v_lshlrev_b64 v[74:75], 4, v[74:75]
	v_fma_f64 v[86:87], v[87:88], -0.5, v[62:63]
	v_add_co_u32 v72, vcc_lo, s4, v72
	v_add_f64 v[36:37], v[90:91], v[68:69]
	v_add_f64 v[38:39], v[66:67], v[70:71]
	;; [unrolled: 1-line block ×5, first 2 shown]
	v_add_co_ci_u32_e32 v73, vcc_lo, s5, v73, vcc_lo
	v_add_co_u32 v72, vcc_lo, v72, v74
	v_fma_f64 v[48:49], v[92:93], s[0:1], v[76:77]
	v_fma_f64 v[50:51], v[64:65], s[2:3], v[78:79]
	;; [unrolled: 1-line block ×12, first 2 shown]
	ds_write_b128 v212, v[36:39]
	ds_write_b128 v212, v[40:43] offset:1584
	ds_write_b128 v212, v[48:51] offset:4752
	;; [unrolled: 1-line block ×8, first 2 shown]
	s_waitcnt lgkmcnt(0)
	s_barrier
	buffer_gl0_inv
	ds_read_b128 v[36:39], v212
	ds_read_b128 v[40:43], v212 offset:1584
	ds_read_b128 v[44:47], v212 offset:3168
	;; [unrolled: 1-line block ×8, first 2 shown]
	v_add_co_ci_u32_e32 v73, vcc_lo, v73, v75, vcc_lo
	s_mul_i32 s1, s9, 0x630
	s_mul_hi_u32 s2, s8, 0x630
	s_mul_i32 s0, s8, 0x630
	s_add_i32 s1, s2, s1
	v_add_co_u32 v74, vcc_lo, v72, s0
	v_add_co_ci_u32_e32 v75, vcc_lo, s1, v73, vcc_lo
	v_add_co_u32 v76, vcc_lo, v74, s0
	v_add_co_ci_u32_e32 v77, vcc_lo, s1, v75, vcc_lo
	s_waitcnt lgkmcnt(8)
	v_mul_f64 v[80:81], v[2:3], v[38:39]
	v_mul_f64 v[2:3], v[2:3], v[36:37]
	s_waitcnt lgkmcnt(7)
	v_mul_f64 v[82:83], v[6:7], v[42:43]
	v_mul_f64 v[6:7], v[6:7], v[40:41]
	;; [unrolled: 3-line block ×9, first 2 shown]
	v_add_co_u32 v78, vcc_lo, v76, s0
	v_add_co_ci_u32_e32 v79, vcc_lo, s1, v77, vcc_lo
	v_fma_f64 v[36:37], v[0:1], v[36:37], v[80:81]
	v_fma_f64 v[2:3], v[0:1], v[38:39], -v[2:3]
	v_fma_f64 v[38:39], v[4:5], v[40:41], v[82:83]
	v_fma_f64 v[6:7], v[4:5], v[42:43], -v[6:7]
	v_fma_f64 v[40:41], v[8:9], v[44:45], v[84:85]
	v_fma_f64 v[10:11], v[8:9], v[46:47], -v[10:11]
	v_fma_f64 v[42:43], v[12:13], v[48:49], v[86:87]
	v_fma_f64 v[14:15], v[12:13], v[50:51], -v[14:15]
	v_fma_f64 v[44:45], v[20:21], v[52:53], v[88:89]
	v_fma_f64 v[20:21], v[20:21], v[54:55], -v[22:23]
	v_fma_f64 v[22:23], v[16:17], v[56:57], v[90:91]
	v_fma_f64 v[46:47], v[16:17], v[58:59], -v[18:19]
	v_fma_f64 v[48:49], v[24:25], v[60:61], v[92:93]
	v_fma_f64 v[26:27], v[24:25], v[62:63], -v[26:27]
	v_fma_f64 v[50:51], v[28:29], v[64:65], v[94:95]
	v_fma_f64 v[30:31], v[28:29], v[66:67], -v[30:31]
	v_fma_f64 v[52:53], v[32:33], v[68:69], v[96:97]
	v_fma_f64 v[34:35], v[32:33], v[70:71], -v[34:35]
	v_add_co_u32 v98, vcc_lo, v78, s0
	v_add_co_ci_u32_e32 v99, vcc_lo, s1, v79, vcc_lo
	v_mul_f64 v[0:1], v[36:37], s[6:7]
	v_mul_f64 v[2:3], v[2:3], s[6:7]
	;; [unrolled: 1-line block ×10, first 2 shown]
	v_add_co_u32 v54, vcc_lo, v98, s0
	v_mul_f64 v[20:21], v[22:23], s[6:7]
	v_mul_f64 v[22:23], v[46:47], s[6:7]
	;; [unrolled: 1-line block ×4, first 2 shown]
	v_add_co_ci_u32_e32 v55, vcc_lo, s1, v99, vcc_lo
	v_mul_f64 v[28:29], v[50:51], s[6:7]
	v_mul_f64 v[30:31], v[30:31], s[6:7]
	;; [unrolled: 1-line block ×4, first 2 shown]
	v_add_co_u32 v36, vcc_lo, v54, s0
	v_add_co_ci_u32_e32 v37, vcc_lo, s1, v55, vcc_lo
	v_add_co_u32 v38, vcc_lo, v36, s0
	v_add_co_ci_u32_e32 v39, vcc_lo, s1, v37, vcc_lo
	;; [unrolled: 2-line block ×3, first 2 shown]
	global_store_dwordx4 v[72:73], v[0:3], off
	global_store_dwordx4 v[74:75], v[4:7], off
	;; [unrolled: 1-line block ×9, first 2 shown]
.LBB0_10:
	s_endpgm
	.section	.rodata,"a",@progbits
	.p2align	6, 0x0
	.amdhsa_kernel bluestein_single_back_len891_dim1_dp_op_CI_CI
		.amdhsa_group_segment_fixed_size 28512
		.amdhsa_private_segment_fixed_size 0
		.amdhsa_kernarg_size 104
		.amdhsa_user_sgpr_count 6
		.amdhsa_user_sgpr_private_segment_buffer 1
		.amdhsa_user_sgpr_dispatch_ptr 0
		.amdhsa_user_sgpr_queue_ptr 0
		.amdhsa_user_sgpr_kernarg_segment_ptr 1
		.amdhsa_user_sgpr_dispatch_id 0
		.amdhsa_user_sgpr_flat_scratch_init 0
		.amdhsa_user_sgpr_private_segment_size 0
		.amdhsa_wavefront_size32 1
		.amdhsa_uses_dynamic_stack 0
		.amdhsa_system_sgpr_private_segment_wavefront_offset 0
		.amdhsa_system_sgpr_workgroup_id_x 1
		.amdhsa_system_sgpr_workgroup_id_y 0
		.amdhsa_system_sgpr_workgroup_id_z 0
		.amdhsa_system_sgpr_workgroup_info 0
		.amdhsa_system_vgpr_workitem_id 0
		.amdhsa_next_free_vgpr 249
		.amdhsa_next_free_sgpr 40
		.amdhsa_reserve_vcc 1
		.amdhsa_reserve_flat_scratch 0
		.amdhsa_float_round_mode_32 0
		.amdhsa_float_round_mode_16_64 0
		.amdhsa_float_denorm_mode_32 3
		.amdhsa_float_denorm_mode_16_64 3
		.amdhsa_dx10_clamp 1
		.amdhsa_ieee_mode 1
		.amdhsa_fp16_overflow 0
		.amdhsa_workgroup_processor_mode 1
		.amdhsa_memory_ordered 1
		.amdhsa_forward_progress 0
		.amdhsa_shared_vgpr_count 0
		.amdhsa_exception_fp_ieee_invalid_op 0
		.amdhsa_exception_fp_denorm_src 0
		.amdhsa_exception_fp_ieee_div_zero 0
		.amdhsa_exception_fp_ieee_overflow 0
		.amdhsa_exception_fp_ieee_underflow 0
		.amdhsa_exception_fp_ieee_inexact 0
		.amdhsa_exception_int_div_zero 0
	.end_amdhsa_kernel
	.text
.Lfunc_end0:
	.size	bluestein_single_back_len891_dim1_dp_op_CI_CI, .Lfunc_end0-bluestein_single_back_len891_dim1_dp_op_CI_CI
                                        ; -- End function
	.section	.AMDGPU.csdata,"",@progbits
; Kernel info:
; codeLenInByte = 14740
; NumSgprs: 42
; NumVgprs: 249
; ScratchSize: 0
; MemoryBound: 0
; FloatMode: 240
; IeeeMode: 1
; LDSByteSize: 28512 bytes/workgroup (compile time only)
; SGPRBlocks: 5
; VGPRBlocks: 31
; NumSGPRsForWavesPerEU: 42
; NumVGPRsForWavesPerEU: 249
; Occupancy: 4
; WaveLimiterHint : 1
; COMPUTE_PGM_RSRC2:SCRATCH_EN: 0
; COMPUTE_PGM_RSRC2:USER_SGPR: 6
; COMPUTE_PGM_RSRC2:TRAP_HANDLER: 0
; COMPUTE_PGM_RSRC2:TGID_X_EN: 1
; COMPUTE_PGM_RSRC2:TGID_Y_EN: 0
; COMPUTE_PGM_RSRC2:TGID_Z_EN: 0
; COMPUTE_PGM_RSRC2:TIDIG_COMP_CNT: 0
	.text
	.p2alignl 6, 3214868480
	.fill 48, 4, 3214868480
	.type	__hip_cuid_2c379e1754a9b0a2,@object ; @__hip_cuid_2c379e1754a9b0a2
	.section	.bss,"aw",@nobits
	.globl	__hip_cuid_2c379e1754a9b0a2
__hip_cuid_2c379e1754a9b0a2:
	.byte	0                               ; 0x0
	.size	__hip_cuid_2c379e1754a9b0a2, 1

	.ident	"AMD clang version 19.0.0git (https://github.com/RadeonOpenCompute/llvm-project roc-6.4.0 25133 c7fe45cf4b819c5991fe208aaa96edf142730f1d)"
	.section	".note.GNU-stack","",@progbits
	.addrsig
	.addrsig_sym __hip_cuid_2c379e1754a9b0a2
	.amdgpu_metadata
---
amdhsa.kernels:
  - .args:
      - .actual_access:  read_only
        .address_space:  global
        .offset:         0
        .size:           8
        .value_kind:     global_buffer
      - .actual_access:  read_only
        .address_space:  global
        .offset:         8
        .size:           8
        .value_kind:     global_buffer
      - .actual_access:  read_only
        .address_space:  global
        .offset:         16
        .size:           8
        .value_kind:     global_buffer
      - .actual_access:  read_only
        .address_space:  global
        .offset:         24
        .size:           8
        .value_kind:     global_buffer
      - .actual_access:  read_only
        .address_space:  global
        .offset:         32
        .size:           8
        .value_kind:     global_buffer
      - .offset:         40
        .size:           8
        .value_kind:     by_value
      - .address_space:  global
        .offset:         48
        .size:           8
        .value_kind:     global_buffer
      - .address_space:  global
        .offset:         56
        .size:           8
        .value_kind:     global_buffer
      - .address_space:  global
        .offset:         64
        .size:           8
        .value_kind:     global_buffer
      - .address_space:  global
        .offset:         72
        .size:           8
        .value_kind:     global_buffer
      - .offset:         80
        .size:           4
        .value_kind:     by_value
      - .address_space:  global
        .offset:         88
        .size:           8
        .value_kind:     global_buffer
      - .address_space:  global
        .offset:         96
        .size:           8
        .value_kind:     global_buffer
    .group_segment_fixed_size: 28512
    .kernarg_segment_align: 8
    .kernarg_segment_size: 104
    .language:       OpenCL C
    .language_version:
      - 2
      - 0
    .max_flat_workgroup_size: 198
    .name:           bluestein_single_back_len891_dim1_dp_op_CI_CI
    .private_segment_fixed_size: 0
    .sgpr_count:     42
    .sgpr_spill_count: 0
    .symbol:         bluestein_single_back_len891_dim1_dp_op_CI_CI.kd
    .uniform_work_group_size: 1
    .uses_dynamic_stack: false
    .vgpr_count:     249
    .vgpr_spill_count: 0
    .wavefront_size: 32
    .workgroup_processor_mode: 1
amdhsa.target:   amdgcn-amd-amdhsa--gfx1030
amdhsa.version:
  - 1
  - 2
...

	.end_amdgpu_metadata
